;; amdgpu-corpus repo=ROCm/rocFFT kind=compiled arch=gfx906 opt=O3
	.text
	.amdgcn_target "amdgcn-amd-amdhsa--gfx906"
	.amdhsa_code_object_version 6
	.protected	bluestein_single_fwd_len1785_dim1_dp_op_CI_CI ; -- Begin function bluestein_single_fwd_len1785_dim1_dp_op_CI_CI
	.globl	bluestein_single_fwd_len1785_dim1_dp_op_CI_CI
	.p2align	8
	.type	bluestein_single_fwd_len1785_dim1_dp_op_CI_CI,@function
bluestein_single_fwd_len1785_dim1_dp_op_CI_CI: ; @bluestein_single_fwd_len1785_dim1_dp_op_CI_CI
; %bb.0:
	s_mov_b64 s[66:67], s[2:3]
	s_mov_b64 s[64:65], s[0:1]
	v_mul_u32_u24_e32 v1, 0x227, v0
	s_add_u32 s64, s64, s7
	v_add_u32_sdwa v3, s6, v1 dst_sel:DWORD dst_unused:UNUSED_PAD src0_sel:DWORD src1_sel:WORD_1
	s_addc_u32 s65, s65, 0
	v_mov_b32_e32 v2, v3
	buffer_store_dword v2, off, s[64:67], 0 ; 4-byte Folded Spill
	s_nop 0
	buffer_store_dword v3, off, s[64:67], 0 offset:4 ; 4-byte Folded Spill
	s_load_dwordx4 s[0:3], s[4:5], 0x28
	v_mov_b32_e32 v4, 0
	s_waitcnt lgkmcnt(0)
	v_cmp_gt_u64_e32 vcc, s[0:1], v[3:4]
	s_and_saveexec_b64 s[0:1], vcc
	s_cbranch_execz .LBB0_23
; %bb.1:
	s_load_dwordx2 s[12:13], s[4:5], 0x0
	s_load_dwordx2 s[14:15], s[4:5], 0x38
	s_movk_i32 s0, 0x77
	v_mul_lo_u16_sdwa v1, v1, s0 dst_sel:DWORD dst_unused:UNUSED_PAD src0_sel:WORD_1 src1_sel:DWORD
	v_sub_u16_e32 v234, v0, v1
	s_movk_i32 s0, 0x69
	v_cmp_gt_u16_e64 s[0:1], s0, v234
	v_lshlrev_b32_e32 v132, 4, v234
	s_and_saveexec_b64 s[16:17], s[0:1]
	s_cbranch_execz .LBB0_3
; %bb.2:
	s_load_dwordx2 s[6:7], s[4:5], 0x18
	s_waitcnt lgkmcnt(0)
	v_mov_b32_e32 v16, s13
	s_load_dwordx4 s[8:11], s[6:7], 0x0
	buffer_load_dword v0, off, s[64:67], 0  ; 4-byte Folded Reload
	buffer_load_dword v1, off, s[64:67], 0 offset:4 ; 4-byte Folded Reload
	s_waitcnt lgkmcnt(0)
	v_mad_u64_u32 v[2:3], s[6:7], s8, v234, 0
	s_waitcnt vmcnt(1)
	v_mov_b32_e32 v4, v0
	s_waitcnt vmcnt(0)
	v_mad_u64_u32 v[0:1], s[6:7], s10, v4, 0
	v_mad_u64_u32 v[4:5], s[6:7], s11, v4, v[1:2]
	;; [unrolled: 1-line block ×3, first 2 shown]
	v_mov_b32_e32 v1, v4
	v_lshlrev_b64 v[0:1], 4, v[0:1]
	v_mov_b32_e32 v3, v5
	v_mov_b32_e32 v6, s3
	v_lshlrev_b64 v[2:3], 4, v[2:3]
	v_add_co_u32_e32 v0, vcc, s2, v0
	v_addc_co_u32_e32 v1, vcc, v6, v1, vcc
	v_add_co_u32_e32 v36, vcc, v0, v2
	v_addc_co_u32_e32 v37, vcc, v1, v3, vcc
	global_load_dwordx4 v[0:3], v132, s[12:13]
	global_load_dwordx4 v[4:7], v[36:37], off
	v_add_co_u32_e32 v126, vcc, s12, v132
	s_movk_i32 s2, 0x1000
	s_movk_i32 s3, 0x2000
	v_addc_co_u32_e32 v127, vcc, 0, v16, vcc
	v_add_co_u32_e32 v38, vcc, s2, v126
	v_add_co_u32_e64 v40, s[2:3], s3, v126
	v_addc_co_u32_e32 v39, vcc, 0, v127, vcc
	v_addc_co_u32_e64 v41, vcc, 0, v127, s[2:3]
	s_mul_i32 s3, s9, 0x690
	s_mul_hi_u32 s9, s8, 0x690
	s_mul_i32 s2, s8, 0x690
	s_add_i32 s3, s9, s3
	global_load_dwordx4 v[8:11], v132, s[12:13] offset:1680
	global_load_dwordx4 v[12:15], v132, s[12:13] offset:3360
	global_load_dwordx4 v[16:19], v[38:39], off offset:944
	global_load_dwordx4 v[20:23], v[38:39], off offset:2624
	;; [unrolled: 1-line block ×5, first 2 shown]
	v_mov_b32_e32 v38, s3
	v_add_co_u32_e32 v39, vcc, s2, v36
	v_addc_co_u32_e32 v40, vcc, v37, v38, vcc
	v_mov_b32_e32 v42, s3
	v_add_co_u32_e32 v41, vcc, s2, v39
	v_addc_co_u32_e32 v42, vcc, v40, v42, vcc
	;; [unrolled: 3-line block ×5, first 2 shown]
	v_mov_b32_e32 v57, s3
	v_add_co_u32_e32 v59, vcc, s2, v55
	global_load_dwordx4 v[36:39], v[39:40], off
	v_addc_co_u32_e32 v60, vcc, v56, v57, vcc
	global_load_dwordx4 v[44:47], v[47:48], off
	v_mov_b32_e32 v61, s3
	global_load_dwordx4 v[40:43], v[41:42], off
	v_add_co_u32_e32 v63, vcc, s2, v59
	global_load_dwordx4 v[48:51], v[51:52], off
	s_movk_i32 s6, 0x3000
	v_addc_co_u32_e32 v64, vcc, v60, v61, vcc
	v_add_co_u32_e64 v80, s[6:7], s6, v126
	v_mov_b32_e32 v65, s3
	v_add_co_u32_e32 v68, vcc, s2, v63
	v_addc_co_u32_e32 v69, vcc, v64, v65, vcc
	v_addc_co_u32_e64 v81, vcc, 0, v127, s[6:7]
	v_mov_b32_e32 v70, s3
	v_add_co_u32_e32 v82, vcc, s2, v68
	v_addc_co_u32_e32 v83, vcc, v69, v70, vcc
	global_load_dwordx4 v[52:55], v[55:56], off
	v_add_co_u32_e32 v84, vcc, s2, v82
	global_load_dwordx4 v[56:59], v[59:60], off
	s_movk_i32 s6, 0x4000
	global_load_dwordx4 v[60:63], v[63:64], off
	v_mov_b32_e32 v86, s3
	global_load_dwordx4 v[64:67], v[68:69], off
	s_nop 0
	global_load_dwordx4 v[68:71], v[82:83], off
	global_load_dwordx4 v[72:75], v[80:81], off offset:1152
	global_load_dwordx4 v[76:79], v[80:81], off offset:2832
	v_mov_b32_e32 v80, s3
	v_addc_co_u32_e32 v85, vcc, v83, v80, vcc
	v_add_co_u32_e32 v104, vcc, s6, v126
	v_addc_co_u32_e32 v105, vcc, 0, v127, vcc
	v_add_co_u32_e32 v96, vcc, s2, v84
	v_addc_co_u32_e32 v97, vcc, v85, v86, vcc
	v_mov_b32_e32 v98, s3
	v_add_co_u32_e32 v106, vcc, s2, v96
	v_addc_co_u32_e32 v107, vcc, v97, v98, vcc
	global_load_dwordx4 v[80:83], v[84:85], off
	s_nop 0
	global_load_dwordx4 v[84:87], v[96:97], off
	global_load_dwordx4 v[88:91], v[104:105], off offset:416
	global_load_dwordx4 v[92:95], v[104:105], off offset:2096
	s_nop 0
	global_load_dwordx4 v[96:99], v[106:107], off
	global_load_dwordx4 v[100:103], v[104:105], off offset:3776
	v_mov_b32_e32 v104, s3
	v_add_co_u32_e32 v108, vcc, s2, v106
	v_addc_co_u32_e32 v109, vcc, v107, v104, vcc
	s_movk_i32 s6, 0x5000
	v_add_co_u32_e32 v116, vcc, s6, v126
	v_addc_co_u32_e32 v117, vcc, 0, v127, vcc
	v_mov_b32_e32 v110, s3
	v_add_co_u32_e32 v120, vcc, s2, v108
	v_addc_co_u32_e32 v121, vcc, v109, v110, vcc
	v_mov_b32_e32 v122, s3
	v_add_co_u32_e32 v124, vcc, s2, v120
	v_addc_co_u32_e32 v125, vcc, v121, v122, vcc
	s_movk_i32 s6, 0x6000
	v_add_co_u32_e32 v133, vcc, s6, v126
	global_load_dwordx4 v[104:107], v[108:109], off
	v_addc_co_u32_e32 v134, vcc, 0, v127, vcc
	global_load_dwordx4 v[108:111], v[120:121], off
	global_load_dwordx4 v[112:115], v[116:117], off offset:1360
	s_nop 0
	global_load_dwordx4 v[116:119], v[116:117], off offset:3040
	v_mov_b32_e32 v126, s3
	v_add_co_u32_e32 v128, vcc, s2, v124
	global_load_dwordx4 v[120:123], v[124:125], off
	v_addc_co_u32_e32 v129, vcc, v125, v126, vcc
	global_load_dwordx4 v[124:127], v[133:134], off offset:624
	s_nop 0
	global_load_dwordx4 v[128:131], v[128:129], off
	s_nop 0
	global_load_dwordx4 v[133:136], v[133:134], off offset:2304
	s_waitcnt vmcnt(32)
	v_mul_f64 v[137:138], v[6:7], v[2:3]
	v_mul_f64 v[139:140], v[4:5], v[2:3]
	v_fma_f64 v[2:3], v[4:5], v[0:1], v[137:138]
	v_fma_f64 v[4:5], v[6:7], v[0:1], -v[139:140]
	s_waitcnt vmcnt(24)
	v_mul_f64 v[0:1], v[38:39], v[10:11]
	s_waitcnt vmcnt(22)
	v_mul_f64 v[6:7], v[40:41], v[14:15]
	ds_write_b128 v132, v[2:5]
	v_mul_f64 v[2:3], v[36:37], v[10:11]
	v_mul_f64 v[4:5], v[42:43], v[14:15]
	;; [unrolled: 1-line block ×4, first 2 shown]
	s_waitcnt vmcnt(21)
	v_mul_f64 v[18:19], v[50:51], v[22:23]
	v_mul_f64 v[22:23], v[48:49], v[22:23]
	v_fma_f64 v[0:1], v[36:37], v[8:9], v[0:1]
	v_fma_f64 v[6:7], v[42:43], v[12:13], -v[6:7]
	v_fma_f64 v[2:3], v[38:39], v[8:9], -v[2:3]
	v_fma_f64 v[4:5], v[40:41], v[12:13], v[4:5]
	v_fma_f64 v[8:9], v[44:45], v[16:17], v[10:11]
	v_fma_f64 v[10:11], v[46:47], v[16:17], -v[14:15]
	v_fma_f64 v[12:13], v[48:49], v[20:21], v[18:19]
	s_waitcnt vmcnt(20)
	v_mul_f64 v[16:17], v[54:55], v[26:27]
	v_mul_f64 v[18:19], v[52:53], v[26:27]
	v_fma_f64 v[14:15], v[50:51], v[20:21], -v[22:23]
	s_waitcnt vmcnt(19)
	v_mul_f64 v[20:21], v[58:59], v[30:31]
	v_mul_f64 v[22:23], v[56:57], v[30:31]
	s_waitcnt vmcnt(18)
	v_mul_f64 v[26:27], v[62:63], v[34:35]
	v_mul_f64 v[30:31], v[60:61], v[34:35]
	s_waitcnt vmcnt(15)
	v_mul_f64 v[34:35], v[66:67], v[74:75]
	v_mul_f64 v[36:37], v[64:65], v[74:75]
	v_fma_f64 v[16:17], v[52:53], v[24:25], v[16:17]
	v_fma_f64 v[18:19], v[54:55], v[24:25], -v[18:19]
	v_fma_f64 v[20:21], v[56:57], v[28:29], v[20:21]
	v_fma_f64 v[22:23], v[58:59], v[28:29], -v[22:23]
	;; [unrolled: 2-line block ×4, first 2 shown]
	ds_write_b128 v132, v[0:3] offset:1680
	ds_write_b128 v132, v[4:7] offset:3360
	;; [unrolled: 1-line block ×8, first 2 shown]
	s_waitcnt vmcnt(14)
	v_mul_f64 v[0:1], v[70:71], v[78:79]
	v_mul_f64 v[2:3], v[68:69], v[78:79]
	s_waitcnt vmcnt(11)
	v_mul_f64 v[4:5], v[82:83], v[90:91]
	v_mul_f64 v[6:7], v[80:81], v[90:91]
	;; [unrolled: 3-line block ×4, first 2 shown]
	v_fma_f64 v[0:1], v[68:69], v[76:77], v[0:1]
	v_fma_f64 v[2:3], v[70:71], v[76:77], -v[2:3]
	v_fma_f64 v[4:5], v[80:81], v[88:89], v[4:5]
	v_fma_f64 v[6:7], v[82:83], v[88:89], -v[6:7]
	;; [unrolled: 2-line block ×4, first 2 shown]
	s_waitcnt vmcnt(5)
	v_mul_f64 v[16:17], v[106:107], v[114:115]
	v_mul_f64 v[18:19], v[104:105], v[114:115]
	s_waitcnt vmcnt(4)
	v_mul_f64 v[20:21], v[110:111], v[118:119]
	v_mul_f64 v[22:23], v[108:109], v[118:119]
	;; [unrolled: 3-line block ×4, first 2 shown]
	v_fma_f64 v[16:17], v[104:105], v[112:113], v[16:17]
	v_fma_f64 v[18:19], v[106:107], v[112:113], -v[18:19]
	v_fma_f64 v[20:21], v[108:109], v[116:117], v[20:21]
	v_fma_f64 v[22:23], v[110:111], v[116:117], -v[22:23]
	;; [unrolled: 2-line block ×4, first 2 shown]
	ds_write_b128 v132, v[0:3] offset:15120
	ds_write_b128 v132, v[4:7] offset:16800
	;; [unrolled: 1-line block ×8, first 2 shown]
.LBB0_3:
	s_or_b64 exec, exec, s[16:17]
	s_load_dwordx2 s[2:3], s[4:5], 0x20
	s_load_dwordx2 s[8:9], s[4:5], 0x8
	s_waitcnt vmcnt(0) lgkmcnt(0)
	s_barrier
	s_waitcnt lgkmcnt(0)
                                        ; implicit-def: $vgpr0_vgpr1
                                        ; implicit-def: $vgpr64_vgpr65
                                        ; implicit-def: $vgpr72_vgpr73
                                        ; implicit-def: $vgpr60_vgpr61
                                        ; implicit-def: $vgpr56_vgpr57
                                        ; implicit-def: $vgpr52_vgpr53
                                        ; implicit-def: $vgpr4_vgpr5
                                        ; implicit-def: $vgpr8_vgpr9
                                        ; implicit-def: $vgpr12_vgpr13
                                        ; implicit-def: $vgpr16_vgpr17
                                        ; implicit-def: $vgpr20_vgpr21
                                        ; implicit-def: $vgpr28_vgpr29
                                        ; implicit-def: $vgpr32_vgpr33
                                        ; implicit-def: $vgpr36_vgpr37
                                        ; implicit-def: $vgpr40_vgpr41
                                        ; implicit-def: $vgpr44_vgpr45
                                        ; implicit-def: $vgpr48_vgpr49
	s_and_saveexec_b64 s[4:5], s[0:1]
	s_cbranch_execz .LBB0_5
; %bb.4:
	ds_read_b128 v[0:3], v132
	ds_read_b128 v[64:67], v132 offset:1680
	ds_read_b128 v[72:75], v132 offset:3360
	;; [unrolled: 1-line block ×16, first 2 shown]
.LBB0_5:
	s_or_b64 exec, exec, s[4:5]
	s_waitcnt lgkmcnt(0)
	v_add_f64 v[150:151], v[66:67], -v[50:51]
	v_add_f64 v[140:141], v[64:65], -v[48:49]
	s_mov_b32 s18, 0x5d8e7cdc
	s_mov_b32 s19, 0xbfd71e95
	v_add_f64 v[116:117], v[64:65], v[48:49]
	v_add_f64 v[124:125], v[66:67], v[50:51]
	v_add_f64 v[174:175], v[74:75], -v[46:47]
	v_add_f64 v[152:153], v[72:73], -v[44:45]
	v_mul_f64 v[84:85], v[150:151], s[18:19]
	v_mul_f64 v[86:87], v[140:141], s[18:19]
	s_mov_b32 s4, 0x370991
	s_mov_b32 s24, 0x2a9d6da3
	;; [unrolled: 1-line block ×4, first 2 shown]
	v_mul_f64 v[88:89], v[150:151], s[24:25]
	v_mul_f64 v[130:131], v[140:141], s[24:25]
	v_fma_f64 v[24:25], v[116:117], s[4:5], v[84:85]
	v_fma_f64 v[26:27], v[124:125], s[4:5], -v[86:87]
	v_add_f64 v[126:127], v[72:73], v[44:45]
	v_add_f64 v[142:143], v[74:75], v[46:47]
	v_mul_f64 v[90:91], v[174:175], s[24:25]
	v_mul_f64 v[92:93], v[152:153], s[24:25]
	v_add_f64 v[190:191], v[62:63], -v[42:43]
	v_add_f64 v[176:177], v[60:61], -v[40:41]
	s_mov_b32 s6, 0x75d4884
	s_mov_b32 s16, 0xeb564b22
	;; [unrolled: 1-line block ×6, first 2 shown]
	v_fma_f64 v[68:69], v[116:117], s[6:7], v[88:89]
	v_fma_f64 v[70:71], v[124:125], s[6:7], -v[130:131]
	v_add_f64 v[24:25], v[0:1], v[24:25]
	v_add_f64 v[26:27], v[2:3], v[26:27]
	v_mul_f64 v[94:95], v[174:175], s[16:17]
	v_mul_f64 v[136:137], v[152:153], s[16:17]
	v_fma_f64 v[76:77], v[126:127], s[6:7], v[90:91]
	v_fma_f64 v[78:79], v[142:143], s[6:7], -v[92:93]
	v_add_f64 v[138:139], v[60:61], v[40:41]
	v_add_f64 v[148:149], v[62:63], v[42:43]
	v_mul_f64 v[96:97], v[190:191], s[34:35]
	v_mul_f64 v[98:99], v[176:177], s[34:35]
	v_add_f64 v[206:207], v[58:59], -v[38:39]
	v_add_f64 v[194:195], v[56:57], -v[36:37]
	s_mov_b32 s10, 0x3259b75e
	s_mov_b32 s20, 0x2b2883cd
	;; [unrolled: 1-line block ×6, first 2 shown]
	v_add_f64 v[68:69], v[0:1], v[68:69]
	v_add_f64 v[70:71], v[2:3], v[70:71]
	v_fma_f64 v[80:81], v[126:127], s[10:11], v[94:95]
	v_fma_f64 v[82:83], v[142:143], s[10:11], -v[136:137]
	v_add_f64 v[24:25], v[76:77], v[24:25]
	v_add_f64 v[26:27], v[78:79], v[26:27]
	v_mul_f64 v[122:123], v[190:191], s[40:41]
	v_mul_f64 v[154:155], v[176:177], s[40:41]
	v_fma_f64 v[76:77], v[138:139], s[20:21], v[96:97]
	v_fma_f64 v[78:79], v[148:149], s[20:21], -v[98:99]
	v_add_f64 v[170:171], v[56:57], v[36:37]
	v_add_f64 v[172:173], v[58:59], v[38:39]
	v_mul_f64 v[128:129], v[206:207], s[16:17]
	v_mul_f64 v[232:233], v[194:195], s[16:17]
	v_add_f64 v[220:221], v[54:55], -v[34:35]
	v_add_f64 v[204:205], v[52:53], -v[32:33]
	s_mov_b32 s26, 0x6ed5f1bb
	s_mov_b32 s44, 0xacd6c6b4
	;; [unrolled: 1-line block ×6, first 2 shown]
	v_add_f64 v[68:69], v[80:81], v[68:69]
	v_add_f64 v[70:71], v[82:83], v[70:71]
	v_fma_f64 v[80:81], v[138:139], s[26:27], v[122:123]
	v_fma_f64 v[82:83], v[148:149], s[26:27], -v[154:155]
	v_add_f64 v[24:25], v[76:77], v[24:25]
	v_add_f64 v[26:27], v[78:79], v[26:27]
	v_mul_f64 v[134:135], v[206:207], s[44:45]
	v_mul_f64 v[166:167], v[194:195], s[44:45]
	v_fma_f64 v[76:77], v[170:171], s[10:11], v[128:129]
	v_fma_f64 v[78:79], v[172:173], s[10:11], -v[232:233]
	v_add_f64 v[162:163], v[52:53], v[32:33]
	v_add_f64 v[188:189], v[54:55], v[34:35]
	v_mul_f64 v[144:145], v[220:221], s[46:47]
	v_mul_f64 v[146:147], v[204:205], s[46:47]
	s_mov_b32 s28, 0x7faef3
	s_mov_b32 s38, 0xc61f0d01
	;; [unrolled: 1-line block ×6, first 2 shown]
	v_add_f64 v[68:69], v[80:81], v[68:69]
	v_add_f64 v[70:71], v[82:83], v[70:71]
	v_fma_f64 v[80:81], v[170:171], s[28:29], v[134:135]
	v_fma_f64 v[82:83], v[172:173], s[28:29], -v[166:167]
	v_add_f64 v[24:25], v[76:77], v[24:25]
	v_add_f64 v[26:27], v[78:79], v[26:27]
	v_fma_f64 v[76:77], v[162:163], s[38:39], v[144:145]
	v_fma_f64 v[78:79], v[188:189], s[38:39], -v[146:147]
	v_add_f64 v[228:229], v[6:7], -v[30:31]
	v_add_f64 v[222:223], v[4:5], -v[28:29]
	v_mul_f64 v[160:161], v[220:221], s[36:37]
	v_mul_f64 v[196:197], v[204:205], s[36:37]
	s_mov_b32 s30, 0x910ea3b9
	s_mov_b32 s31, 0xbfeb34fa
	;; [unrolled: 1-line block ×4, first 2 shown]
	v_add_f64 v[68:69], v[80:81], v[68:69]
	v_add_f64 v[70:71], v[82:83], v[70:71]
	;; [unrolled: 1-line block ×4, first 2 shown]
	v_mul_f64 v[156:157], v[228:229], s[40:41]
	v_mul_f64 v[158:159], v[222:223], s[40:41]
	v_add_f64 v[24:25], v[76:77], v[24:25]
	v_add_f64 v[26:27], v[78:79], v[26:27]
	v_fma_f64 v[76:77], v[162:163], s[30:31], v[160:161]
	v_fma_f64 v[78:79], v[188:189], s[30:31], -v[196:197]
	v_mul_f64 v[164:165], v[228:229], s[48:49]
	v_mul_f64 v[198:199], v[222:223], s[48:49]
	v_add_f64 v[230:231], v[10:11], -v[22:23]
	v_add_f64 v[208:209], v[8:9], -v[20:21]
	s_mov_b32 s43, 0xbfe0d888
	s_mov_b32 s42, s36
	;; [unrolled: 1-line block ×4, first 2 shown]
	v_fma_f64 v[80:81], v[184:185], s[26:27], v[156:157]
	v_fma_f64 v[82:83], v[202:203], s[26:27], -v[158:159]
	v_add_f64 v[68:69], v[76:77], v[68:69]
	v_add_f64 v[70:71], v[78:79], v[70:71]
	v_fma_f64 v[76:77], v[184:185], s[38:39], v[164:165]
	v_fma_f64 v[78:79], v[202:203], s[38:39], -v[198:199]
	v_add_f64 v[200:201], v[8:9], v[20:21]
	v_add_f64 v[214:215], v[10:11], v[22:23]
	v_mul_f64 v[168:169], v[230:231], s[42:43]
	v_mul_f64 v[178:179], v[208:209], s[42:43]
	;; [unrolled: 1-line block ×4, first 2 shown]
	v_add_f64 v[226:227], v[14:15], -v[18:19]
	v_add_f64 v[216:217], v[12:13], -v[16:17]
	s_mov_b32 s51, 0x3fd71e95
	s_mov_b32 s50, s18
	v_add_f64 v[24:25], v[80:81], v[24:25]
	v_add_f64 v[26:27], v[82:83], v[26:27]
	;; [unrolled: 1-line block ×4, first 2 shown]
	v_fma_f64 v[76:77], v[200:201], s[30:31], v[168:169]
	v_fma_f64 v[78:79], v[214:215], s[30:31], -v[178:179]
	v_fma_f64 v[80:81], v[200:201], s[20:21], v[180:181]
	v_fma_f64 v[82:83], v[214:215], s[20:21], -v[210:211]
	v_add_f64 v[212:213], v[12:13], v[16:17]
	v_add_f64 v[224:225], v[14:15], v[18:19]
	v_mul_f64 v[182:183], v[226:227], s[44:45]
	v_mul_f64 v[186:187], v[216:217], s[44:45]
	;; [unrolled: 1-line block ×4, first 2 shown]
	v_add_f64 v[24:25], v[76:77], v[24:25]
	v_add_f64 v[26:27], v[78:79], v[26:27]
	;; [unrolled: 1-line block ×4, first 2 shown]
	v_fma_f64 v[68:69], v[212:213], s[28:29], v[182:183]
	v_fma_f64 v[70:71], v[224:225], s[28:29], -v[186:187]
	v_fma_f64 v[80:81], v[212:213], s[4:5], v[192:193]
	v_fma_f64 v[82:83], v[224:225], s[4:5], -v[218:219]
	s_barrier
	v_add_f64 v[68:69], v[68:69], v[24:25]
	v_add_f64 v[70:71], v[70:71], v[26:27]
	;; [unrolled: 1-line block ×4, first 2 shown]
	s_mov_b64 s[22:23], exec
	s_and_b64 s[54:55], s[22:23], s[0:1]
	buffer_store_dword v234, off, s[64:67], 0 offset:8 ; 4-byte Folded Spill
	s_mov_b64 exec, s[54:55]
	s_cbranch_execz .LBB0_7
; %bb.6:
	v_mul_f64 v[76:77], v[124:125], s[28:29]
	buffer_store_dword v84, off, s[64:67], 0 offset:12 ; 4-byte Folded Spill
	s_nop 0
	buffer_store_dword v85, off, s[64:67], 0 offset:16 ; 4-byte Folded Spill
	s_mov_b32 s55, 0x3fc7851a
	s_mov_b32 s54, s44
	buffer_store_dword v86, off, s[64:67], 0 offset:108 ; 4-byte Folded Spill
	s_nop 0
	buffer_store_dword v87, off, s[64:67], 0 offset:112 ; 4-byte Folded Spill
	buffer_store_dword v88, off, s[64:67], 0 offset:76 ; 4-byte Folded Spill
	s_nop 0
	buffer_store_dword v89, off, s[64:67], 0 offset:80 ; 4-byte Folded Spill
	v_mul_f64 v[84:85], v[142:143], s[4:5]
	v_mul_f64 v[86:87], v[150:151], s[44:45]
	v_fma_f64 v[88:89], v[140:141], s[54:55], v[76:77]
	buffer_store_dword v90, off, s[64:67], 0 offset:44 ; 4-byte Folded Spill
	s_nop 0
	buffer_store_dword v91, off, s[64:67], 0 offset:48 ; 4-byte Folded Spill
	buffer_store_dword v92, off, s[64:67], 0 offset:92 ; 4-byte Folded Spill
	s_nop 0
	buffer_store_dword v93, off, s[64:67], 0 offset:96 ; 4-byte Folded Spill
	;; [unrolled: 3-line block ×5, first 2 shown]
	v_mul_f64 v[92:93], v[148:149], s[30:31]
	v_mul_f64 v[94:95], v[174:175], s[50:51]
	v_fma_f64 v[96:97], v[152:153], s[18:19], v[84:85]
	v_fma_f64 v[98:99], v[116:117], s[28:29], v[86:87]
	v_add_f64 v[88:89], v[2:3], v[88:89]
	v_mul_f64 v[100:101], v[172:173], s[6:7]
	v_mul_f64 v[102:103], v[190:191], s[42:43]
	v_fma_f64 v[76:77], v[140:141], s[44:45], v[76:77]
	v_fma_f64 v[234:235], v[176:177], s[36:37], v[92:93]
	;; [unrolled: 1-line block ×3, first 2 shown]
	s_mov_b32 s57, 0x3fe58eea
	v_add_f64 v[98:99], v[0:1], v[98:99]
	v_add_f64 v[88:89], v[96:97], v[88:89]
	s_mov_b32 s56, s24
	v_mul_f64 v[90:91], v[188:189], s[26:27]
	v_mul_f64 v[96:97], v[206:207], s[56:57]
	v_fma_f64 v[84:85], v[152:153], s[50:51], v[84:85]
	v_add_f64 v[76:77], v[2:3], v[76:77]
	v_fma_f64 v[238:239], v[194:195], s[24:25], v[100:101]
	v_fma_f64 v[240:241], v[138:139], s[30:31], v[102:103]
	v_add_f64 v[98:99], v[236:237], v[98:99]
	v_add_f64 v[88:89], v[234:235], v[88:89]
	s_mov_b32 s61, 0x3fe9895b
	s_mov_b32 s60, s40
	v_mul_f64 v[82:83], v[202:203], s[20:21]
	v_mul_f64 v[234:235], v[220:221], s[40:41]
	v_fma_f64 v[92:93], v[176:177], s[42:43], v[92:93]
	v_add_f64 v[76:77], v[84:85], v[76:77]
	v_fma_f64 v[84:85], v[204:205], s[60:61], v[90:91]
	v_fma_f64 v[236:237], v[170:171], s[6:7], v[96:97]
	v_add_f64 v[98:99], v[240:241], v[98:99]
	v_add_f64 v[88:89], v[238:239], v[88:89]
	v_mul_f64 v[240:241], v[228:229], s[52:53]
	v_fma_f64 v[100:101], v[194:195], s[56:57], v[100:101]
	v_fma_f64 v[242:243], v[162:163], s[26:27], v[234:235]
	v_add_f64 v[76:77], v[92:93], v[76:77]
	v_fma_f64 v[92:93], v[222:223], s[34:35], v[82:83]
	v_fma_f64 v[86:87], v[116:117], s[28:29], -v[86:87]
	v_add_f64 v[98:99], v[236:237], v[98:99]
	v_add_f64 v[84:85], v[84:85], v[88:89]
	v_mul_f64 v[80:81], v[214:215], s[38:39]
	v_mul_f64 v[238:239], v[230:231], s[46:47]
	v_fma_f64 v[90:91], v[204:205], s[40:41], v[90:91]
	v_add_f64 v[76:77], v[100:101], v[76:77]
	v_fma_f64 v[236:237], v[184:185], s[20:21], v[240:241]
	v_add_f64 v[86:87], v[0:1], v[86:87]
	v_add_f64 v[98:99], v[242:243], v[98:99]
	;; [unrolled: 1-line block ×3, first 2 shown]
	v_fma_f64 v[92:93], v[126:127], s[4:5], -v[94:95]
	s_mov_b32 s59, 0x3fefdd0d
	s_mov_b32 s58, s16
	v_mul_f64 v[78:79], v[224:225], s[10:11]
	v_fma_f64 v[100:101], v[208:209], s[48:49], v[80:81]
	v_fma_f64 v[82:83], v[222:223], s[52:53], v[82:83]
	v_add_f64 v[76:77], v[90:91], v[76:77]
	v_mul_f64 v[90:91], v[226:227], s[58:59]
	v_fma_f64 v[94:95], v[200:201], s[38:39], v[238:239]
	v_add_f64 v[98:99], v[236:237], v[98:99]
	v_fma_f64 v[102:103], v[138:139], s[30:31], -v[102:103]
	v_add_f64 v[86:87], v[92:93], v[86:87]
	v_fma_f64 v[88:89], v[216:217], s[16:17], v[78:79]
	v_fma_f64 v[80:81], v[208:209], s[46:47], v[80:81]
	v_add_f64 v[76:77], v[82:83], v[76:77]
	v_add_f64 v[82:83], v[100:101], v[84:85]
	v_fma_f64 v[84:85], v[212:213], s[10:11], v[90:91]
	v_mul_f64 v[92:93], v[124:125], s[30:31]
	v_add_f64 v[94:95], v[94:95], v[98:99]
	v_fma_f64 v[96:97], v[170:171], s[6:7], -v[96:97]
	v_add_f64 v[86:87], v[102:103], v[86:87]
	v_fma_f64 v[98:99], v[216:217], s[58:59], v[78:79]
	v_add_f64 v[80:81], v[80:81], v[76:77]
	v_add_f64 v[78:79], v[88:89], v[82:83]
	v_mul_f64 v[88:89], v[142:143], s[20:21]
	v_fma_f64 v[100:101], v[140:141], s[36:37], v[92:93]
	v_add_f64 v[76:77], v[84:85], v[94:95]
	v_fma_f64 v[84:85], v[162:163], s[26:27], -v[234:235]
	v_mul_f64 v[94:95], v[150:151], s[42:43]
	v_add_f64 v[86:87], v[96:97], v[86:87]
	v_add_f64 v[82:83], v[98:99], v[80:81]
	v_mul_f64 v[80:81], v[148:149], s[10:11]
	v_fma_f64 v[96:97], v[152:153], s[34:35], v[88:89]
	v_add_f64 v[98:99], v[2:3], v[100:101]
	v_fma_f64 v[100:101], v[184:185], s[20:21], -v[240:241]
	v_mul_f64 v[102:103], v[174:175], s[52:53]
	v_fma_f64 v[234:235], v[116:117], s[30:31], v[94:95]
	v_add_f64 v[84:85], v[84:85], v[86:87]
	v_fma_f64 v[86:87], v[200:201], s[38:39], -v[238:239]
	v_fma_f64 v[238:239], v[176:177], s[58:59], v[80:81]
	v_fma_f64 v[92:93], v[140:141], s[42:43], v[92:93]
	v_add_f64 v[96:97], v[96:97], v[98:99]
	v_mul_f64 v[98:99], v[190:191], s[16:17]
	v_fma_f64 v[240:241], v[126:127], s[20:21], v[102:103]
	v_add_f64 v[234:235], v[0:1], v[234:235]
	v_add_f64 v[84:85], v[100:101], v[84:85]
	v_fma_f64 v[94:95], v[116:117], s[30:31], -v[94:95]
	v_mul_f64 v[236:237], v[172:173], s[26:27]
	v_fma_f64 v[102:103], v[126:127], s[20:21], -v[102:103]
	v_add_f64 v[96:97], v[238:239], v[96:97]
	v_mul_f64 v[238:239], v[206:207], s[60:61]
	v_mul_f64 v[100:101], v[188:189], s[4:5]
	v_add_f64 v[234:235], v[240:241], v[234:235]
	v_fma_f64 v[240:241], v[138:139], s[10:11], v[98:99]
	v_add_f64 v[84:85], v[86:87], v[84:85]
	v_fma_f64 v[86:87], v[152:153], s[52:53], v[88:89]
	v_add_f64 v[88:89], v[2:3], v[92:93]
	v_add_f64 v[94:95], v[0:1], v[94:95]
	v_fma_f64 v[242:243], v[194:195], s[40:41], v[236:237]
	v_fma_f64 v[80:81], v[176:177], s[16:17], v[80:81]
	v_fma_f64 v[98:99], v[138:139], s[10:11], -v[98:99]
	v_add_f64 v[234:235], v[240:241], v[234:235]
	v_fma_f64 v[240:241], v[170:171], s[26:27], v[238:239]
	v_mul_f64 v[92:93], v[202:203], s[28:29]
	v_add_f64 v[86:87], v[86:87], v[88:89]
	v_mul_f64 v[88:89], v[220:221], s[18:19]
	v_add_f64 v[94:95], v[102:103], v[94:95]
	v_add_f64 v[96:97], v[242:243], v[96:97]
	v_fma_f64 v[242:243], v[204:205], s[50:51], v[100:101]
	v_mul_f64 v[102:103], v[228:229], s[44:45]
	v_add_f64 v[234:235], v[240:241], v[234:235]
	v_fma_f64 v[236:237], v[194:195], s[60:61], v[236:237]
	v_add_f64 v[80:81], v[80:81], v[86:87]
	v_fma_f64 v[240:241], v[162:163], s[4:5], v[88:89]
	v_fma_f64 v[238:239], v[170:171], s[26:27], -v[238:239]
	v_add_f64 v[94:95], v[98:99], v[94:95]
	v_add_f64 v[96:97], v[242:243], v[96:97]
	v_fma_f64 v[242:243], v[222:223], s[54:55], v[92:93]
	v_mul_f64 v[86:87], v[214:215], s[6:7]
	v_fma_f64 v[98:99], v[184:185], s[28:29], v[102:103]
	v_add_f64 v[80:81], v[236:237], v[80:81]
	v_add_f64 v[234:235], v[240:241], v[234:235]
	v_mul_f64 v[240:241], v[230:231], s[56:57]
	v_fma_f64 v[100:101], v[204:205], s[18:19], v[100:101]
	v_add_f64 v[94:95], v[238:239], v[94:95]
	v_fma_f64 v[88:89], v[162:163], s[4:5], -v[88:89]
	v_fma_f64 v[90:91], v[212:213], s[10:11], -v[90:91]
	v_add_f64 v[96:97], v[242:243], v[96:97]
	v_fma_f64 v[242:243], v[208:209], s[24:25], v[86:87]
	v_mul_f64 v[236:237], v[224:225], s[38:39]
	v_add_f64 v[98:99], v[98:99], v[234:235]
	v_fma_f64 v[234:235], v[200:201], s[6:7], v[240:241]
	v_fma_f64 v[92:93], v[222:223], s[44:45], v[92:93]
	v_add_f64 v[100:101], v[100:101], v[80:81]
	v_mul_f64 v[244:245], v[124:125], s[26:27]
	v_add_f64 v[88:89], v[88:89], v[94:95]
	v_fma_f64 v[102:103], v[184:185], s[28:29], -v[102:103]
	v_mul_f64 v[238:239], v[226:227], s[46:47]
	v_add_f64 v[96:97], v[242:243], v[96:97]
	v_fma_f64 v[242:243], v[216:217], s[48:49], v[236:237]
	v_add_f64 v[98:99], v[234:235], v[98:99]
	v_add_f64 v[80:81], v[90:91], v[84:85]
	v_fma_f64 v[84:85], v[208:209], s[56:57], v[86:87]
	v_mul_f64 v[234:235], v[142:143], s[38:39]
	v_fma_f64 v[90:91], v[140:141], s[60:61], v[244:245]
	v_add_f64 v[92:93], v[92:93], v[100:101]
	v_fma_f64 v[100:101], v[200:201], s[6:7], -v[240:241]
	v_add_f64 v[88:89], v[102:103], v[88:89]
	v_mul_f64 v[102:103], v[150:151], s[40:41]
	v_fma_f64 v[94:95], v[212:213], s[38:39], v[238:239]
	v_add_f64 v[86:87], v[242:243], v[96:97]
	v_mul_f64 v[96:97], v[148:149], s[4:5]
	v_fma_f64 v[240:241], v[152:153], s[46:47], v[234:235]
	v_add_f64 v[90:91], v[2:3], v[90:91]
	v_add_f64 v[92:93], v[84:85], v[92:93]
	v_mul_f64 v[242:243], v[174:175], s[48:49]
	v_add_f64 v[88:89], v[100:101], v[88:89]
	v_fma_f64 v[100:101], v[116:117], s[26:27], v[102:103]
	v_fma_f64 v[236:237], v[216:217], s[46:47], v[236:237]
	v_fma_f64 v[238:239], v[212:213], s[38:39], -v[238:239]
	v_add_f64 v[84:85], v[94:95], v[98:99]
	v_mul_f64 v[98:99], v[172:173], s[30:31]
	v_fma_f64 v[94:95], v[176:177], s[50:51], v[96:97]
	v_add_f64 v[240:241], v[240:241], v[90:91]
	v_fma_f64 v[246:247], v[126:127], s[38:39], v[242:243]
	v_add_f64 v[100:101], v[0:1], v[100:101]
	v_add_f64 v[90:91], v[236:237], v[92:93]
	v_mul_f64 v[236:237], v[190:191], s[18:19]
	v_add_f64 v[88:89], v[238:239], v[88:89]
	v_mul_f64 v[238:239], v[188:189], s[10:11]
	v_fma_f64 v[244:245], v[140:141], s[40:41], v[244:245]
	v_add_f64 v[92:93], v[94:95], v[240:241]
	v_fma_f64 v[94:95], v[194:195], s[36:37], v[98:99]
	v_add_f64 v[100:101], v[246:247], v[100:101]
	v_fma_f64 v[234:235], v[152:153], s[48:49], v[234:235]
	v_fma_f64 v[240:241], v[138:139], s[4:5], v[236:237]
	;; [unrolled: 1-line block ×4, first 2 shown]
	v_add_f64 v[244:245], v[2:3], v[244:245]
	v_mul_f64 v[104:105], v[224:225], s[20:21]
	v_add_f64 v[92:93], v[94:95], v[92:93]
	v_fma_f64 v[94:95], v[204:205], s[16:17], v[238:239]
	v_mul_f64 v[106:107], v[226:227], s[52:53]
	v_add_f64 v[100:101], v[240:241], v[100:101]
	v_mul_f64 v[240:241], v[206:207], s[42:43]
	v_mul_f64 v[112:113], v[224:225], s[26:27]
	v_add_f64 v[234:235], v[234:235], v[244:245]
	v_mul_f64 v[244:245], v[188:189], s[28:29]
	;; [unrolled: 3-line block ×3, first 2 shown]
	v_mul_f64 v[120:121], v[226:227], s[56:57]
	v_fma_f64 v[94:95], v[170:171], s[30:31], v[240:241]
	v_mul_f64 v[226:227], v[226:227], s[42:43]
	v_add_f64 v[96:97], v[96:97], v[234:235]
	v_add_f64 v[94:95], v[94:95], v[100:101]
	v_mul_f64 v[100:101], v[202:203], s[6:7]
	v_add_f64 v[96:97], v[98:99], v[96:97]
	v_fma_f64 v[98:99], v[204:205], s[58:59], v[238:239]
	v_mul_f64 v[238:239], v[142:143], s[30:31]
	v_fma_f64 v[246:247], v[222:223], s[56:57], v[100:101]
	v_fma_f64 v[100:101], v[222:223], s[24:25], v[100:101]
	v_add_f64 v[96:97], v[98:99], v[96:97]
	v_fma_f64 v[98:99], v[116:117], s[26:27], -v[102:103]
	v_fma_f64 v[102:103], v[126:127], s[38:39], -v[242:243]
	v_mul_f64 v[242:243], v[172:173], s[20:21]
	v_add_f64 v[92:93], v[246:247], v[92:93]
	v_mul_f64 v[246:247], v[220:221], s[58:59]
	v_add_f64 v[96:97], v[100:101], v[96:97]
	v_add_f64 v[98:99], v[0:1], v[98:99]
	v_fma_f64 v[248:249], v[162:163], s[10:11], v[246:247]
	v_fma_f64 v[234:235], v[162:163], s[10:11], -v[246:247]
	v_add_f64 v[98:99], v[102:103], v[98:99]
	v_fma_f64 v[102:103], v[138:139], s[4:5], -v[236:237]
	v_mul_f64 v[236:237], v[124:125], s[38:39]
	v_mul_f64 v[246:247], v[174:175], s[36:37]
	v_add_f64 v[94:95], v[248:249], v[94:95]
	v_mul_f64 v[248:249], v[214:215], s[28:29]
	v_add_f64 v[98:99], v[102:103], v[98:99]
	v_fma_f64 v[102:103], v[170:171], s[30:31], -v[240:241]
	v_fma_f64 v[250:251], v[208:209], s[54:55], v[248:249]
	v_fma_f64 v[100:101], v[208:209], s[44:45], v[248:249]
	;; [unrolled: 1-line block ×3, first 2 shown]
	v_add_f64 v[98:99], v[102:103], v[98:99]
	v_fma_f64 v[102:103], v[140:141], s[48:49], v[236:237]
	v_add_f64 v[92:93], v[250:251], v[92:93]
	v_mul_f64 v[250:251], v[228:229], s[24:25]
	v_add_f64 v[96:97], v[100:101], v[96:97]
	v_add_f64 v[98:99], v[234:235], v[98:99]
	v_fma_f64 v[100:101], v[152:153], s[42:43], v[238:239]
	v_add_f64 v[102:103], v[2:3], v[102:103]
	v_fma_f64 v[252:253], v[184:185], s[6:7], v[250:251]
	v_fma_f64 v[234:235], v[184:185], s[6:7], -v[250:251]
	v_add_f64 v[100:101], v[100:101], v[102:103]
	v_add_f64 v[94:95], v[252:253], v[94:95]
	v_mul_f64 v[252:253], v[230:231], s[44:45]
	v_add_f64 v[98:99], v[234:235], v[98:99]
	v_mul_f64 v[234:235], v[148:149], s[6:7]
	v_fma_f64 v[254:255], v[200:201], s[28:29], v[252:253]
	v_fma_f64 v[240:241], v[200:201], s[28:29], -v[252:253]
	v_fma_f64 v[102:103], v[176:177], s[24:25], v[234:235]
	v_fma_f64 v[234:235], v[176:177], s[56:57], v[234:235]
	v_add_f64 v[254:255], v[254:255], v[94:95]
	v_fma_f64 v[94:95], v[216:217], s[34:35], v[104:105]
	v_fma_f64 v[104:105], v[216:217], s[52:53], v[104:105]
	v_add_f64 v[240:241], v[240:241], v[98:99]
	v_add_f64 v[100:101], v[102:103], v[100:101]
	v_fma_f64 v[102:103], v[194:195], s[52:53], v[242:243]
	v_add_f64 v[94:95], v[94:95], v[92:93]
	v_fma_f64 v[92:93], v[212:213], s[20:21], v[106:107]
	v_fma_f64 v[106:107], v[212:213], s[20:21], -v[106:107]
	v_add_f64 v[98:99], v[104:105], v[96:97]
	v_fma_f64 v[104:105], v[204:205], s[54:55], v[244:245]
	v_add_f64 v[100:101], v[102:103], v[100:101]
	v_add_f64 v[92:93], v[92:93], v[254:255]
	v_add_f64 v[96:97], v[106:107], v[240:241]
	v_mul_f64 v[106:107], v[202:203], s[10:11]
	v_mul_f64 v[240:241], v[150:151], s[46:47]
	v_add_f64 v[100:101], v[104:105], v[100:101]
	v_mul_f64 v[104:105], v[214:215], s[4:5]
	v_fma_f64 v[102:103], v[222:223], s[16:17], v[106:107]
	v_fma_f64 v[106:107], v[222:223], s[58:59], v[106:107]
	v_add_f64 v[100:101], v[102:103], v[100:101]
	v_fma_f64 v[102:103], v[208:209], s[50:51], v[104:105]
	v_fma_f64 v[104:105], v[208:209], s[18:19], v[104:105]
	v_add_f64 v[100:101], v[102:103], v[100:101]
	v_fma_f64 v[102:103], v[116:117], s[38:39], v[240:241]
	v_add_f64 v[102:103], v[0:1], v[102:103]
	v_add_f64 v[102:103], v[248:249], v[102:103]
	v_mul_f64 v[248:249], v[190:191], s[56:57]
	v_fma_f64 v[250:251], v[138:139], s[6:7], v[248:249]
	v_add_f64 v[102:103], v[250:251], v[102:103]
	v_mul_f64 v[250:251], v[206:207], s[34:35]
	v_fma_f64 v[252:253], v[170:171], s[20:21], v[250:251]
	;; [unrolled: 3-line block ×5, first 2 shown]
	v_fma_f64 v[108:109], v[200:201], s[4:5], -v[108:109]
	v_add_f64 v[110:111], v[110:111], v[102:103]
	v_fma_f64 v[102:103], v[216:217], s[60:61], v[112:113]
	v_fma_f64 v[112:113], v[216:217], s[40:41], v[112:113]
	v_add_f64 v[102:103], v[102:103], v[100:101]
	v_fma_f64 v[100:101], v[212:213], s[26:27], v[114:115]
	v_add_f64 v[100:101], v[100:101], v[110:111]
	v_fma_f64 v[110:111], v[140:141], s[46:47], v[236:237]
	v_fma_f64 v[236:237], v[152:153], s[36:37], v[238:239]
	v_mul_f64 v[238:239], v[214:215], s[26:27]
	v_add_f64 v[110:111], v[2:3], v[110:111]
	v_add_f64 v[110:111], v[236:237], v[110:111]
	v_fma_f64 v[236:237], v[126:127], s[30:31], -v[246:247]
	v_add_f64 v[110:111], v[234:235], v[110:111]
	v_fma_f64 v[234:235], v[116:117], s[38:39], -v[240:241]
	v_mul_f64 v[240:241], v[150:151], s[16:17]
	v_add_f64 v[234:235], v[0:1], v[234:235]
	v_add_f64 v[234:235], v[236:237], v[234:235]
	v_fma_f64 v[236:237], v[138:139], s[6:7], -v[248:249]
	v_add_f64 v[234:235], v[236:237], v[234:235]
	v_fma_f64 v[236:237], v[194:195], s[34:35], v[242:243]
	v_mul_f64 v[242:243], v[174:175], s[44:45]
	v_add_f64 v[110:111], v[236:237], v[110:111]
	v_fma_f64 v[236:237], v[170:171], s[20:21], -v[250:251]
	v_add_f64 v[234:235], v[236:237], v[234:235]
	v_fma_f64 v[236:237], v[204:205], s[44:45], v[244:245]
	v_fma_f64 v[244:245], v[126:127], s[28:29], v[242:243]
	v_add_f64 v[110:111], v[236:237], v[110:111]
	v_fma_f64 v[236:237], v[162:163], s[28:29], -v[252:253]
	v_add_f64 v[106:107], v[106:107], v[110:111]
	v_add_f64 v[234:235], v[236:237], v[234:235]
	v_fma_f64 v[110:111], v[184:185], s[10:11], -v[254:255]
	v_mul_f64 v[236:237], v[142:143], s[28:29]
	v_add_f64 v[104:105], v[104:105], v[106:107]
	v_fma_f64 v[106:107], v[212:213], s[26:27], -v[114:115]
	v_add_f64 v[110:111], v[110:111], v[234:235]
	v_add_f64 v[114:115], v[2:3], v[66:67]
	;; [unrolled: 1-line block ×5, first 2 shown]
	v_mul_f64 v[110:111], v[124:125], s[10:11]
	v_add_f64 v[112:113], v[234:235], v[72:73]
	v_fma_f64 v[72:73], v[152:153], s[54:55], v[236:237]
	v_mul_f64 v[234:235], v[202:203], s[30:31]
	v_add_f64 v[64:65], v[106:107], v[108:109]
	v_fma_f64 v[104:105], v[140:141], s[58:59], v[110:111]
	v_mul_f64 v[106:107], v[148:149], s[38:39]
	v_add_f64 v[108:109], v[114:115], v[74:75]
	v_mul_f64 v[114:115], v[172:173], s[4:5]
	v_add_f64 v[60:61], v[112:113], v[60:61]
	v_fma_f64 v[112:113], v[216:217], s[56:57], v[118:119]
	v_add_f64 v[74:75], v[2:3], v[104:105]
	v_fma_f64 v[104:105], v[176:177], s[46:47], v[106:107]
	;; [unrolled: 2-line block ×3, first 2 shown]
	v_fma_f64 v[110:111], v[152:153], s[44:45], v[236:237]
	v_fma_f64 v[106:107], v[176:177], s[48:49], v[106:107]
	v_add_f64 v[60:61], v[60:61], v[56:57]
	v_add_f64 v[72:73], v[72:73], v[74:75]
	v_fma_f64 v[74:75], v[194:195], s[18:19], v[114:115]
	v_add_f64 v[62:63], v[62:63], v[58:59]
	v_add_f64 v[108:109], v[2:3], v[108:109]
	;; [unrolled: 1-line block ×4, first 2 shown]
	v_mul_f64 v[104:105], v[188:189], s[20:21]
	v_add_f64 v[54:55], v[62:63], v[54:55]
	v_add_f64 v[108:109], v[110:111], v[108:109]
	;; [unrolled: 1-line block ×4, first 2 shown]
	v_fma_f64 v[74:75], v[204:205], s[52:53], v[104:105]
	v_fma_f64 v[104:105], v[204:205], s[34:35], v[104:105]
	v_add_f64 v[106:107], v[106:107], v[108:109]
	v_fma_f64 v[108:109], v[194:195], s[50:51], v[114:115]
	v_fma_f64 v[114:115], v[212:213], s[6:7], -v[120:121]
	v_add_f64 v[6:7], v[54:55], v[6:7]
	v_add_f64 v[4:5], v[4:5], v[8:9]
	;; [unrolled: 1-line block ×3, first 2 shown]
	v_fma_f64 v[74:75], v[222:223], s[36:37], v[234:235]
	v_add_f64 v[106:107], v[108:109], v[106:107]
	v_fma_f64 v[108:109], v[126:127], s[28:29], -v[242:243]
	v_add_f64 v[6:7], v[6:7], v[10:11]
	v_add_f64 v[4:5], v[4:5], v[12:13]
	v_add_f64 v[72:73], v[74:75], v[72:73]
	v_fma_f64 v[74:75], v[208:209], s[40:41], v[238:239]
	v_add_f64 v[104:105], v[104:105], v[106:107]
	v_fma_f64 v[106:107], v[222:223], s[42:43], v[234:235]
	buffer_load_dword v234, off, s[64:67], 0 offset:8 ; 4-byte Folded Reload
	v_add_f64 v[6:7], v[6:7], v[14:15]
	v_add_f64 v[4:5], v[4:5], v[16:17]
	;; [unrolled: 1-line block ×3, first 2 shown]
	v_fma_f64 v[74:75], v[116:117], s[10:11], v[240:241]
	v_add_f64 v[104:105], v[106:107], v[104:105]
	v_fma_f64 v[106:107], v[116:117], s[10:11], -v[240:241]
	v_add_f64 v[6:7], v[6:7], v[18:19]
	v_add_f64 v[4:5], v[4:5], v[20:21]
	;; [unrolled: 1-line block ×7, first 2 shown]
	v_mul_f64 v[244:245], v[190:191], s[48:49]
	v_add_f64 v[106:107], v[108:109], v[106:107]
	v_add_f64 v[6:7], v[6:7], v[30:31]
	v_add_f64 v[4:5], v[4:5], v[32:33]
	v_fma_f64 v[246:247], v[138:139], s[38:39], v[244:245]
	v_fma_f64 v[108:109], v[138:139], s[38:39], -v[244:245]
	v_add_f64 v[6:7], v[6:7], v[34:35]
	v_add_f64 v[4:5], v[4:5], v[36:37]
	;; [unrolled: 1-line block ×3, first 2 shown]
	v_mul_f64 v[246:247], v[206:207], s[50:51]
	v_add_f64 v[106:107], v[108:109], v[106:107]
	v_add_f64 v[6:7], v[6:7], v[38:39]
	;; [unrolled: 1-line block ×3, first 2 shown]
	v_fma_f64 v[248:249], v[170:171], s[4:5], v[246:247]
	v_fma_f64 v[108:109], v[170:171], s[4:5], -v[246:247]
	v_add_f64 v[6:7], v[6:7], v[42:43]
	v_add_f64 v[4:5], v[4:5], v[44:45]
	;; [unrolled: 1-line block ×3, first 2 shown]
	v_mul_f64 v[248:249], v[220:221], s[34:35]
	v_add_f64 v[106:107], v[108:109], v[106:107]
	v_add_f64 v[30:31], v[6:7], v[46:47]
	v_fma_f64 v[250:251], v[162:163], s[20:21], v[248:249]
	v_fma_f64 v[108:109], v[162:163], s[20:21], -v[248:249]
	v_add_f64 v[74:75], v[250:251], v[74:75]
	v_mul_f64 v[250:251], v[228:229], s[42:43]
	v_add_f64 v[106:107], v[108:109], v[106:107]
	v_fma_f64 v[252:253], v[184:185], s[30:31], v[250:251]
	v_fma_f64 v[108:109], v[184:185], s[30:31], -v[250:251]
	v_add_f64 v[74:75], v[252:253], v[74:75]
	v_mul_f64 v[252:253], v[230:231], s[60:61]
	v_add_f64 v[106:107], v[108:109], v[106:107]
	v_fma_f64 v[108:109], v[208:209], s[60:61], v[238:239]
	v_fma_f64 v[254:255], v[200:201], s[26:27], v[252:253]
	v_fma_f64 v[110:111], v[200:201], s[26:27], -v[252:253]
	v_add_f64 v[104:105], v[108:109], v[104:105]
	v_mul_f64 v[108:109], v[124:125], s[20:21]
	v_add_f64 v[254:255], v[254:255], v[74:75]
	v_fma_f64 v[74:75], v[216:217], s[24:25], v[118:119]
	v_add_f64 v[106:107], v[110:111], v[106:107]
	v_mul_f64 v[118:119], v[142:143], s[26:27]
	v_mul_f64 v[110:111], v[150:151], s[34:35]
	v_add_f64 v[58:59], v[112:113], v[104:105]
	v_mul_f64 v[104:105], v[174:175], s[40:41]
	v_mul_f64 v[150:151], v[172:173], s[38:39]
	;; [unrolled: 1-line block ×3, first 2 shown]
	v_add_f64 v[74:75], v[74:75], v[72:73]
	v_fma_f64 v[72:73], v[212:213], s[6:7], v[120:121]
	v_fma_f64 v[120:121], v[140:141], s[52:53], v[108:109]
	v_add_f64 v[56:57], v[114:115], v[106:107]
	v_mul_f64 v[106:107], v[148:149], s[28:29]
	v_fma_f64 v[114:115], v[152:153], s[60:61], v[118:119]
	v_fma_f64 v[108:109], v[140:141], s[34:35], v[108:109]
	;; [unrolled: 1-line block ×4, first 2 shown]
	v_fma_f64 v[110:111], v[116:117], s[20:21], -v[110:111]
	v_add_f64 v[120:121], v[2:3], v[120:121]
	v_fma_f64 v[60:61], v[126:127], s[26:27], v[104:105]
	v_fma_f64 v[140:141], v[194:195], s[46:47], v[150:151]
	v_fma_f64 v[104:105], v[126:127], s[26:27], -v[104:105]
	v_add_f64 v[108:109], v[2:3], v[108:109]
	v_add_f64 v[62:63], v[0:1], v[112:113]
	v_mul_f64 v[112:113], v[190:191], s[54:55]
	v_add_f64 v[110:111], v[0:1], v[110:111]
	v_add_f64 v[114:115], v[114:115], v[120:121]
	v_fma_f64 v[120:121], v[176:177], s[44:45], v[106:107]
	v_fma_f64 v[106:107], v[176:177], s[54:55], v[106:107]
	v_mul_f64 v[152:153], v[202:203], s[4:5]
	v_add_f64 v[108:109], v[118:119], v[108:109]
	v_add_f64 v[60:61], v[60:61], v[62:63]
	v_fma_f64 v[62:63], v[138:139], s[28:29], v[112:113]
	v_fma_f64 v[150:151], v[194:195], s[48:49], v[150:151]
	v_fma_f64 v[112:113], v[138:139], s[28:29], -v[112:113]
	v_add_f64 v[114:115], v[120:121], v[114:115]
	v_mul_f64 v[120:121], v[188:189], s[6:7]
	v_add_f64 v[104:105], v[104:105], v[110:111]
	v_add_f64 v[106:107], v[106:107], v[108:109]
	v_mul_f64 v[190:191], v[220:221], s[56:57]
	v_add_f64 v[60:61], v[62:63], v[60:61]
	v_fma_f64 v[62:63], v[170:171], s[38:39], v[174:175]
	v_fma_f64 v[174:175], v[170:171], s[38:39], -v[174:175]
	v_add_f64 v[114:115], v[140:141], v[114:115]
	v_fma_f64 v[140:141], v[204:205], s[24:25], v[120:121]
	v_add_f64 v[104:105], v[112:113], v[104:105]
	v_add_f64 v[106:107], v[150:151], v[106:107]
	v_mul_f64 v[150:151], v[142:143], s[6:7]
	v_mul_f64 v[142:143], v[142:143], s[10:11]
	v_mul_f64 v[206:207], v[228:229], s[18:19]
	v_add_f64 v[60:61], v[62:63], v[60:61]
	v_fma_f64 v[62:63], v[162:163], s[6:7], v[190:191]
	v_add_f64 v[114:115], v[140:141], v[114:115]
	v_fma_f64 v[140:141], v[222:223], s[50:51], v[152:153]
	v_fma_f64 v[152:153], v[222:223], s[18:19], v[152:153]
	v_mul_f64 v[222:223], v[148:149], s[20:21]
	v_mul_f64 v[148:149], v[148:149], s[26:27]
	v_add_f64 v[136:137], v[136:137], v[142:143]
	v_mul_f64 v[142:143], v[162:163], s[38:39]
	v_add_f64 v[104:105], v[174:175], v[104:105]
	v_fma_f64 v[54:55], v[184:185], s[4:5], -v[206:207]
	v_mul_f64 v[194:195], v[124:125], s[4:5]
	v_mul_f64 v[124:125], v[124:125], s[6:7]
	;; [unrolled: 1-line block ×3, first 2 shown]
	v_add_f64 v[148:149], v[154:155], v[148:149]
	v_mul_f64 v[154:155], v[162:163], s[30:31]
	v_fma_f64 v[162:163], v[162:163], s[6:7], -v[190:191]
	v_mul_f64 v[176:177], v[116:117], s[4:5]
	v_mul_f64 v[108:109], v[116:117], s[6:7]
	v_add_f64 v[114:115], v[140:141], v[114:115]
	v_add_f64 v[124:125], v[130:131], v[124:125]
	v_fma_f64 v[140:141], v[208:209], s[58:59], v[118:119]
	v_mul_f64 v[116:117], v[172:173], s[10:11]
	v_mul_f64 v[172:173], v[172:173], s[28:29]
	v_add_f64 v[104:105], v[162:163], v[104:105]
	v_fma_f64 v[120:121], v[204:205], s[56:57], v[120:121]
	v_mul_f64 v[204:205], v[126:127], s[6:7]
	v_mul_f64 v[110:111], v[202:203], s[26:27]
	v_add_f64 v[124:125], v[2:3], v[124:125]
	v_add_f64 v[114:115], v[140:141], v[114:115]
	v_mul_f64 v[140:141], v[126:127], s[10:11]
	v_mul_f64 v[126:127], v[188:189], s[38:39]
	v_add_f64 v[10:11], v[54:55], v[104:105]
	buffer_load_dword v104, off, s[64:67], 0 offset:108 ; 4-byte Folded Reload
	buffer_load_dword v105, off, s[64:67], 0 offset:112 ; 4-byte Folded Reload
	;; [unrolled: 1-line block ×6, first 2 shown]
	v_add_f64 v[124:125], v[136:137], v[124:125]
	v_mul_f64 v[188:189], v[188:189], s[30:31]
	v_add_f64 v[166:167], v[166:167], v[172:173]
	v_add_f64 v[106:107], v[120:121], v[106:107]
	v_mul_f64 v[202:203], v[202:203], s[38:39]
	v_mul_f64 v[172:173], v[214:215], s[30:31]
	;; [unrolled: 1-line block ×3, first 2 shown]
	v_fma_f64 v[118:119], v[208:209], s[16:17], v[118:119]
	v_add_f64 v[124:125], v[148:149], v[124:125]
	v_add_f64 v[188:189], v[196:197], v[188:189]
	v_mul_f64 v[220:221], v[230:231], s[16:17]
	v_add_f64 v[106:107], v[152:153], v[106:107]
	v_add_f64 v[198:199], v[198:199], v[202:203]
	;; [unrolled: 1-line block ×3, first 2 shown]
	v_fma_f64 v[62:63], v[184:185], s[4:5], v[206:207]
	v_mul_f64 v[120:121], v[138:139], s[26:27]
	v_add_f64 v[124:125], v[166:167], v[124:125]
	v_mul_f64 v[130:131], v[170:171], s[10:11]
	v_mul_f64 v[170:171], v[170:171], s[28:29]
	v_add_f64 v[106:107], v[118:119], v[106:107]
	v_add_f64 v[118:119], v[210:211], v[214:215]
	;; [unrolled: 1-line block ×4, first 2 shown]
	v_fma_f64 v[62:63], v[200:201], s[10:11], v[220:221]
	v_add_f64 v[124:125], v[188:189], v[124:125]
	v_mul_f64 v[136:137], v[184:185], s[26:27]
	v_add_f64 v[20:21], v[170:171], -v[134:135]
	v_mul_f64 v[148:149], v[200:201], s[30:31]
	v_mul_f64 v[112:113], v[200:201], s[20:21]
	;; [unrolled: 1-line block ×4, first 2 shown]
	v_add_f64 v[60:61], v[62:63], v[60:61]
	v_add_f64 v[124:125], v[198:199], v[124:125]
	v_mul_f64 v[62:63], v[138:139], s[20:21]
	v_mul_f64 v[138:139], v[184:185], s[38:39]
	;; [unrolled: 1-line block ×5, first 2 shown]
	v_fma_f64 v[8:9], v[200:201], s[10:11], -v[220:221]
	v_add_f64 v[28:29], v[196:197], -v[182:183]
	v_add_f64 v[118:119], v[118:119], v[124:125]
	v_fma_f64 v[162:163], v[212:213], s[30:31], -v[226:227]
	v_fma_f64 v[152:153], v[212:213], s[30:31], v[226:227]
	v_fma_f64 v[52:53], v[216:217], s[42:43], v[166:167]
	;; [unrolled: 1-line block ×3, first 2 shown]
	v_add_f64 v[54:55], v[218:219], v[224:225]
	v_add_f64 v[32:33], v[8:9], v[10:11]
	;; [unrolled: 1-line block ×4, first 2 shown]
	s_waitcnt vmcnt(4)
	v_add_f64 v[104:105], v[104:105], v[194:195]
	s_waitcnt vmcnt(2)
	v_add_f64 v[12:13], v[176:177], -v[12:13]
	s_waitcnt vmcnt(0)
	v_add_f64 v[14:15], v[108:109], -v[14:15]
	buffer_load_dword v108, off, s[64:67], 0 offset:124 ; 4-byte Folded Reload
	buffer_load_dword v109, off, s[64:67], 0 offset:128 ; 4-byte Folded Reload
	;; [unrolled: 1-line block ×4, first 2 shown]
	v_add_f64 v[2:3], v[2:3], v[104:105]
	buffer_load_dword v104, off, s[64:67], 0 offset:44 ; 4-byte Folded Reload
	buffer_load_dword v105, off, s[64:67], 0 offset:48 ; 4-byte Folded Reload
	;; [unrolled: 1-line block ×6, first 2 shown]
	v_add_f64 v[12:13], v[0:1], v[12:13]
	v_add_f64 v[0:1], v[0:1], v[14:15]
	v_add_f64 v[14:15], v[120:121], -v[122:123]
	s_waitcnt vmcnt(8)
	v_add_f64 v[108:109], v[140:141], -v[108:109]
	s_waitcnt vmcnt(6)
	v_add_f64 v[124:125], v[124:125], v[150:151]
	s_waitcnt vmcnt(4)
	v_add_f64 v[104:105], v[204:205], -v[104:105]
	s_waitcnt vmcnt(2)
	v_add_f64 v[16:17], v[16:17], v[222:223]
	s_waitcnt vmcnt(0)
	v_add_f64 v[18:19], v[62:63], -v[18:19]
	v_add_f64 v[2:3], v[124:125], v[2:3]
	v_add_f64 v[0:1], v[108:109], v[0:1]
	;; [unrolled: 1-line block ×4, first 2 shown]
	v_add_f64 v[16:17], v[130:131], -v[128:129]
	v_add_f64 v[0:1], v[14:15], v[0:1]
	v_add_f64 v[14:15], v[154:155], -v[160:161]
	v_add_f64 v[12:13], v[18:19], v[12:13]
	v_add_f64 v[18:19], v[146:147], v[126:127]
	;; [unrolled: 1-line block ×3, first 2 shown]
	v_add_f64 v[22:23], v[142:143], -v[144:145]
	v_add_f64 v[0:1], v[20:21], v[0:1]
	v_add_f64 v[20:21], v[158:159], v[110:111]
	;; [unrolled: 1-line block ×3, first 2 shown]
	v_add_f64 v[16:17], v[138:139], -v[164:165]
	v_add_f64 v[2:3], v[18:19], v[2:3]
	v_add_f64 v[18:19], v[136:137], -v[156:157]
	v_add_f64 v[0:1], v[14:15], v[0:1]
	;; [unrolled: 2-line block ×3, first 2 shown]
	v_add_f64 v[22:23], v[178:179], v[172:173]
	v_add_f64 v[2:3], v[20:21], v[2:3]
	v_add_f64 v[20:21], v[148:149], -v[168:169]
	v_add_f64 v[0:1], v[16:17], v[0:1]
	v_add_f64 v[16:17], v[190:191], -v[192:193]
	v_add_f64 v[12:13], v[18:19], v[12:13]
	v_add_f64 v[18:19], v[186:187], v[208:209]
	;; [unrolled: 1-line block ×14, first 2 shown]
	v_mul_lo_u16_e32 v20, 17, v234
	v_lshlrev_b32_e32 v20, 4, v20
	ds_write_b128 v20, v[12:15]
	ds_write_b128 v20, v[8:11] offset:16
	ds_write_b128 v20, v[4:7] offset:32
	;; [unrolled: 1-line block ×16, first 2 shown]
.LBB0_7:
	s_or_b64 exec, exec, s[22:23]
	s_load_dwordx4 s[4:7], s[2:3], 0x0
	s_movk_i32 s2, 0xee
	v_add_co_u32_e32 v204, vcc, s2, v234
	s_movk_i32 s2, 0x165
	v_add_co_u32_e32 v1, vcc, s2, v234
	s_movk_i32 s2, 0xf1
	v_mul_lo_u16_sdwa v0, v234, s2 dst_sel:DWORD dst_unused:UNUSED_PAD src0_sel:BYTE_0 src1_sel:DWORD
	v_lshrrev_b16_e32 v23, 12, v0
	v_mul_lo_u16_e32 v0, 17, v23
	v_sub_u16_e32 v0, v234, v0
	v_and_b32_e32 v102, 0xff, v0
	v_lshlrev_b32_e32 v0, 5, v102
	s_waitcnt vmcnt(0) lgkmcnt(0)
	s_barrier
	global_load_dwordx4 v[120:123], v0, s[8:9] offset:16
	global_load_dwordx4 v[128:131], v0, s[8:9]
	v_add_u16_e32 v0, 0x77, v234
	v_mul_lo_u16_sdwa v2, v0, s2 dst_sel:DWORD dst_unused:UNUSED_PAD src0_sel:BYTE_0 src1_sel:DWORD
	v_lshrrev_b16_e32 v103, 12, v2
	v_mul_lo_u16_e32 v2, 17, v103
	v_sub_u16_e32 v2, v0, v2
	v_and_b32_e32 v104, 0xff, v2
	v_lshlrev_b32_e32 v2, 5, v104
	s_mov_b32 s2, 0xf0f1
	global_load_dwordx4 v[124:127], v2, s[8:9] offset:16
	global_load_dwordx4 v[136:139], v2, s[8:9]
	v_mul_u32_u24_sdwa v2, v204, s2 dst_sel:DWORD dst_unused:UNUSED_PAD src0_sel:WORD_0 src1_sel:DWORD
	v_lshrrev_b32_e32 v105, 20, v2
	v_mul_lo_u16_e32 v2, 17, v105
	v_sub_u16_e32 v106, v204, v2
	v_lshlrev_b16_e32 v2, 1, v106
	v_lshlrev_b32_e32 v2, 4, v2
	global_load_dwordx4 v[40:43], v2, s[8:9] offset:16
	global_load_dwordx4 v[144:147], v2, s[8:9]
	v_mul_u32_u24_sdwa v2, v1, s2 dst_sel:DWORD dst_unused:UNUSED_PAD src0_sel:WORD_0 src1_sel:DWORD
	v_lshrrev_b32_e32 v107, 20, v2
	v_mul_lo_u16_e32 v2, 17, v107
	v_sub_u16_e32 v108, v1, v2
	v_lshlrev_b16_e32 v1, 1, v108
	v_lshlrev_b32_e32 v1, 4, v1
	s_movk_i32 s3, 0x1dc
	global_load_dwordx4 v[148:151], v1, s[8:9]
	global_load_dwordx4 v[140:143], v1, s[8:9] offset:16
	v_add_co_u32_e32 v1, vcc, s3, v234
	v_mul_u32_u24_sdwa v2, v1, s2 dst_sel:DWORD dst_unused:UNUSED_PAD src0_sel:WORD_0 src1_sel:DWORD
	v_lshrrev_b32_e32 v109, 20, v2
	v_mul_lo_u16_e32 v2, 17, v109
	v_sub_u16_e32 v110, v1, v2
	v_lshlrev_b16_e32 v1, 1, v110
	v_lshlrev_b32_e32 v1, 4, v1
	global_load_dwordx4 v[156:159], v1, s[8:9]
	global_load_dwordx4 v[152:155], v1, s[8:9] offset:16
	v_mov_b32_e32 v1, 4
	v_lshlrev_b32_sdwa v134, v1, v234 dst_sel:DWORD dst_unused:UNUSED_PAD src0_sel:DWORD src1_sel:WORD_0
	ds_read_b128 v[1:4], v134
	ds_read_b128 v[5:8], v134 offset:1904
	ds_read_b128 v[9:12], v134 offset:19040
	;; [unrolled: 1-line block ×14, first 2 shown]
	s_mov_b32 s2, 0xe8584caa
	s_mov_b32 s3, 0x3febb67a
	;; [unrolled: 1-line block ×4, first 2 shown]
	s_waitcnt vmcnt(0) lgkmcnt(0)
	s_barrier
	s_mov_b32 s17, 0xbfee6f0e
	s_mov_b32 s19, 0xbfe2cf23
	;; [unrolled: 1-line block ×4, first 2 shown]
	s_movk_i32 s22, 0xff
	v_mul_f64 v[78:79], v[11:12], v[122:123]
	v_mul_f64 v[21:22], v[54:55], v[130:131]
	;; [unrolled: 1-line block ×8, first 2 shown]
	v_fma_f64 v[21:22], v[52:53], v[128:129], -v[21:22]
	v_fma_f64 v[52:53], v[54:55], v[128:129], v[76:77]
	v_fma_f64 v[54:55], v[9:10], v[120:121], -v[78:79]
	v_fma_f64 v[11:12], v[11:12], v[120:121], v[80:81]
	v_mul_f64 v[92:93], v[28:29], v[146:147]
	v_mul_f64 v[90:91], v[30:31], v[146:147]
	v_fma_f64 v[17:18], v[17:18], v[136:137], -v[82:83]
	v_mul_f64 v[94:95], v[46:47], v[42:43]
	v_fma_f64 v[76:77], v[13:14], v[124:125], -v[86:87]
	v_fma_f64 v[78:79], v[15:16], v[124:125], v[88:89]
	v_mul_f64 v[96:97], v[44:45], v[42:43]
	v_fma_f64 v[19:20], v[19:20], v[136:137], v[84:85]
	v_fma_f64 v[82:83], v[30:31], v[144:145], v[92:93]
	v_mul_f64 v[9:10], v[50:51], v[142:143]
	v_fma_f64 v[80:81], v[28:29], v[144:145], -v[90:91]
	v_mul_f64 v[13:14], v[48:49], v[142:143]
	v_add_f64 v[28:29], v[21:22], v[54:55]
	v_fma_f64 v[44:45], v[44:45], v[40:41], -v[94:95]
	v_mul_f64 v[98:99], v[62:63], v[150:151]
	v_mul_f64 v[100:101], v[60:61], v[150:151]
	;; [unrolled: 1-line block ×4, first 2 shown]
	v_fma_f64 v[86:87], v[48:49], v[140:141], -v[9:10]
	v_mul_f64 v[48:49], v[72:73], v[154:155]
	v_mul_f64 v[9:10], v[64:65], v[158:159]
	v_fma_f64 v[88:89], v[50:51], v[140:141], v[13:14]
	v_add_f64 v[13:14], v[1:2], v[21:22]
	v_add_f64 v[50:51], v[17:18], v[76:77]
	v_fma_f64 v[64:65], v[64:65], v[156:157], -v[15:16]
	v_fma_f64 v[72:73], v[72:73], v[152:153], -v[30:31]
	v_add_f64 v[30:31], v[52:53], v[11:12]
	v_fma_f64 v[15:16], v[28:29], -0.5, v[1:2]
	v_add_f64 v[28:29], v[52:53], -v[11:12]
	v_fma_f64 v[74:75], v[74:75], v[152:153], v[48:49]
	v_add_f64 v[48:49], v[3:4], v[52:53]
	v_add_f64 v[21:22], v[21:22], -v[54:55]
	v_fma_f64 v[46:47], v[46:47], v[40:41], v[96:97]
	v_fma_f64 v[66:67], v[66:67], v[156:157], v[9:10]
	v_fma_f64 v[30:31], v[30:31], -0.5, v[3:4]
	v_add_f64 v[1:2], v[13:14], v[54:55]
	v_fma_f64 v[9:10], v[28:29], s[2:3], v[15:16]
	v_fma_f64 v[13:14], v[28:29], s[10:11], v[15:16]
	v_add_f64 v[28:29], v[5:6], v[17:18]
	v_add_f64 v[3:4], v[48:49], v[11:12]
	;; [unrolled: 1-line block ×3, first 2 shown]
	v_fma_f64 v[50:51], v[50:51], -0.5, v[5:6]
	v_add_f64 v[52:53], v[19:20], -v[78:79]
	v_fma_f64 v[11:12], v[21:22], s[10:11], v[30:31]
	v_fma_f64 v[15:16], v[21:22], s[2:3], v[30:31]
	v_add_f64 v[21:22], v[80:81], v[44:45]
	v_fma_f64 v[84:85], v[60:61], v[148:149], -v[98:99]
	v_fma_f64 v[62:63], v[62:63], v[148:149], v[100:101]
	v_add_f64 v[19:20], v[7:8], v[19:20]
	v_add_f64 v[5:6], v[28:29], v[76:77]
	v_fma_f64 v[30:31], v[48:49], -0.5, v[7:8]
	v_add_f64 v[48:49], v[17:18], -v[76:77]
	v_fma_f64 v[17:18], v[52:53], s[2:3], v[50:51]
	v_fma_f64 v[28:29], v[52:53], s[10:11], v[50:51]
	v_add_f64 v[50:51], v[82:83], v[46:47]
	v_add_f64 v[52:53], v[32:33], v[80:81]
	v_fma_f64 v[21:22], v[21:22], -0.5, v[32:33]
	v_add_f64 v[54:55], v[82:83], -v[46:47]
	v_add_f64 v[60:61], v[84:85], v[86:87]
	v_add_f64 v[76:77], v[34:35], v[82:83]
	;; [unrolled: 1-line block ×3, first 2 shown]
	v_fma_f64 v[19:20], v[48:49], s[10:11], v[30:31]
	v_fma_f64 v[30:31], v[48:49], s[2:3], v[30:31]
	v_fma_f64 v[50:51], v[50:51], -0.5, v[34:35]
	v_add_f64 v[78:79], v[80:81], -v[44:45]
	v_add_f64 v[32:33], v[52:53], v[44:45]
	v_fma_f64 v[44:45], v[54:55], s[2:3], v[21:22]
	v_fma_f64 v[48:49], v[54:55], s[10:11], v[21:22]
	v_add_f64 v[21:22], v[62:63], v[88:89]
	v_add_f64 v[52:53], v[36:37], v[84:85]
	v_fma_f64 v[60:61], v[60:61], -0.5, v[36:37]
	v_add_f64 v[80:81], v[62:63], -v[88:89]
	v_add_f64 v[34:35], v[76:77], v[46:47]
	v_add_f64 v[54:55], v[64:65], v[72:73]
	;; [unrolled: 1-line block ×3, first 2 shown]
	v_fma_f64 v[46:47], v[78:79], s[10:11], v[50:51]
	v_fma_f64 v[50:51], v[78:79], s[2:3], v[50:51]
	v_add_f64 v[62:63], v[38:39], v[62:63]
	v_fma_f64 v[21:22], v[21:22], -0.5, v[38:39]
	v_add_f64 v[78:79], v[84:85], -v[86:87]
	v_add_f64 v[36:37], v[52:53], v[86:87]
	v_fma_f64 v[52:53], v[80:81], s[2:3], v[60:61]
	v_fma_f64 v[60:61], v[80:81], s[10:11], v[60:61]
	v_add_f64 v[80:81], v[56:57], v[64:65]
	v_fma_f64 v[82:83], v[54:55], -0.5, v[56:57]
	v_add_f64 v[84:85], v[66:67], -v[74:75]
	v_add_f64 v[66:67], v[58:59], v[66:67]
	v_fma_f64 v[76:77], v[76:77], -0.5, v[58:59]
	v_add_f64 v[86:87], v[64:65], -v[72:73]
	v_add_f64 v[38:39], v[62:63], v[88:89]
	v_fma_f64 v[54:55], v[78:79], s[10:11], v[21:22]
	v_fma_f64 v[62:63], v[78:79], s[2:3], v[21:22]
	v_mul_u32_u24_e32 v21, 51, v23
	v_add_lshl_u32 v21, v21, v102, 4
	v_add_f64 v[56:57], v[80:81], v[72:73]
	v_fma_f64 v[72:73], v[84:85], s[10:11], v[82:83]
	v_add_f64 v[58:59], v[66:67], v[74:75]
	v_fma_f64 v[74:75], v[86:87], s[2:3], v[76:77]
	ds_write_b128 v21, v[1:4]
	ds_write_b128 v21, v[9:12] offset:272
	v_mul_u32_u24_e32 v1, 51, v103
	v_fma_f64 v[64:65], v[84:85], s[2:3], v[82:83]
	v_fma_f64 v[66:67], v[86:87], s[10:11], v[76:77]
	v_add_lshl_u32 v1, v1, v104, 4
	buffer_store_dword v21, off, s[64:67], 0 offset:272 ; 4-byte Folded Spill
	ds_write_b128 v21, v[13:16] offset:544
	ds_write_b128 v1, v[5:8]
	ds_write_b128 v1, v[17:20] offset:272
	buffer_store_dword v1, off, s[64:67], 0 offset:276 ; 4-byte Folded Spill
	ds_write_b128 v1, v[28:31] offset:544
	v_mad_legacy_u16 v1, v105, 51, v106
	v_lshlrev_b32_e32 v1, 4, v1
	ds_write_b128 v1, v[32:35]
	ds_write_b128 v1, v[44:47] offset:272
	buffer_store_dword v1, off, s[64:67], 0 offset:280 ; 4-byte Folded Spill
	ds_write_b128 v1, v[48:51] offset:544
	v_mad_legacy_u16 v1, v107, 51, v108
	v_lshlrev_b32_e32 v1, 4, v1
	;; [unrolled: 6-line block ×3, first 2 shown]
	s_movk_i32 s2, 0xa1
	ds_write_b128 v1, v[56:59]
	ds_write_b128 v1, v[64:67] offset:272
	buffer_store_dword v1, off, s[64:67], 0 offset:304 ; 4-byte Folded Spill
	ds_write_b128 v1, v[72:75] offset:544
	v_mul_lo_u16_sdwa v1, v234, s2 dst_sel:DWORD dst_unused:UNUSED_PAD src0_sel:BYTE_0 src1_sel:DWORD
	v_lshrrev_b16_e32 v1, 13, v1
	v_mul_lo_u16_e32 v2, 51, v1
	v_sub_u16_e32 v2, v234, v2
	v_and_b32_e32 v2, 0xff, v2
	v_lshlrev_b32_e32 v3, 6, v2
	s_waitcnt vmcnt(0) lgkmcnt(0)
	s_barrier
	global_load_dwordx4 v[88:91], v3, s[8:9] offset:544
	global_load_dwordx4 v[80:83], v3, s[8:9] offset:560
	;; [unrolled: 1-line block ×4, first 2 shown]
	v_mul_lo_u16_sdwa v3, v0, s2 dst_sel:DWORD dst_unused:UNUSED_PAD src0_sel:BYTE_0 src1_sel:DWORD
	v_lshrrev_b16_e32 v3, 13, v3
	v_mul_lo_u16_e32 v4, 51, v3
	v_sub_u16_e32 v0, v0, v4
	v_and_b32_e32 v0, 0xff, v0
	v_lshlrev_b32_e32 v4, 6, v0
	s_mov_b32 s2, 0xa0a1
	global_load_dwordx4 v[100:103], v4, s[8:9] offset:544
	global_load_dwordx4 v[96:99], v4, s[8:9] offset:560
	;; [unrolled: 1-line block ×4, first 2 shown]
	v_mul_u32_u24_sdwa v4, v204, s2 dst_sel:DWORD dst_unused:UNUSED_PAD src0_sel:WORD_0 src1_sel:DWORD
	v_lshrrev_b32_e32 v4, 21, v4
	v_mul_lo_u16_e32 v5, 51, v4
	v_sub_u16_e32 v5, v204, v5
	v_lshlrev_b16_e32 v6, 6, v5
	v_mov_b32_e32 v7, s9
	v_add_co_u32_e32 v6, vcc, s8, v6
	v_addc_co_u32_e32 v7, vcc, 0, v7, vcc
	global_load_dwordx4 v[116:119], v[6:7], off offset:544
	global_load_dwordx4 v[92:95], v[6:7], off offset:560
	;; [unrolled: 1-line block ×4, first 2 shown]
	ds_read_b128 v[6:9], v134
	ds_read_b128 v[10:13], v134 offset:1904
	ds_read_b128 v[14:17], v134 offset:11424
	;; [unrolled: 1-line block ×14, first 2 shown]
	s_mov_b32 s2, 0x134454ff
	s_mov_b32 s3, 0x3fee6f0e
	;; [unrolled: 1-line block ×6, first 2 shown]
	v_mul_u32_u24_e32 v1, 0xff, v1
	v_add_lshl_u32 v1, v1, v2, 4
	s_waitcnt vmcnt(11) lgkmcnt(8)
	v_mul_f64 v[22:23], v[38:39], v[90:91]
	v_mul_f64 v[168:169], v[36:37], v[90:91]
	s_waitcnt vmcnt(10)
	v_mul_f64 v[170:171], v[16:17], v[82:83]
	v_mul_f64 v[172:173], v[14:15], v[82:83]
	s_waitcnt vmcnt(9) lgkmcnt(4)
	v_mul_f64 v[174:175], v[58:59], v[74:75]
	v_mul_f64 v[176:177], v[56:57], v[74:75]
	s_waitcnt vmcnt(8)
	v_mul_f64 v[178:179], v[28:29], v[86:87]
	v_fma_f64 v[22:23], v[36:37], v[88:89], -v[22:23]
	buffer_store_dword v88, off, s[64:67], 0 offset:340 ; 4-byte Folded Spill
	s_nop 0
	buffer_store_dword v89, off, s[64:67], 0 offset:344 ; 4-byte Folded Spill
	buffer_store_dword v90, off, s[64:67], 0 offset:348 ; 4-byte Folded Spill
	;; [unrolled: 1-line block ×3, first 2 shown]
	v_mul_f64 v[36:37], v[30:31], v[86:87]
	v_fma_f64 v[30:31], v[30:31], v[84:85], v[178:179]
	s_waitcnt vmcnt(9)
	v_mul_f64 v[178:179], v[32:33], v[78:79]
	v_fma_f64 v[28:29], v[28:29], v[84:85], -v[36:37]
	v_mul_f64 v[36:37], v[48:49], v[102:103]
	v_fma_f64 v[38:39], v[38:39], v[88:89], v[168:169]
	v_fma_f64 v[168:169], v[14:15], v[80:81], -v[170:171]
	buffer_store_dword v80, off, s[64:67], 0 offset:324 ; 4-byte Folded Spill
	s_nop 0
	buffer_store_dword v81, off, s[64:67], 0 offset:328 ; 4-byte Folded Spill
	buffer_store_dword v82, off, s[64:67], 0 offset:332 ; 4-byte Folded Spill
	;; [unrolled: 1-line block ×3, first 2 shown]
	v_mul_f64 v[14:15], v[50:51], v[102:103]
	v_fma_f64 v[50:51], v[50:51], v[100:101], v[36:37]
	v_fma_f64 v[48:49], v[48:49], v[100:101], -v[14:15]
	v_mul_f64 v[14:15], v[34:35], v[78:79]
	v_fma_f64 v[36:37], v[32:33], v[76:77], -v[14:15]
	s_waitcnt vmcnt(11)
	v_mul_f64 v[14:15], v[52:53], v[118:119]
	v_add_f64 v[32:33], v[6:7], v[22:23]
	v_fma_f64 v[180:181], v[54:55], v[116:117], v[14:15]
	v_add_f64 v[14:15], v[32:33], v[168:169]
	v_add_f64 v[32:33], v[38:39], -v[30:31]
	v_fma_f64 v[170:171], v[16:17], v[80:81], v[172:173]
	v_fma_f64 v[16:17], v[56:57], v[72:73], -v[174:175]
	buffer_store_dword v72, off, s[64:67], 0 offset:288 ; 4-byte Folded Spill
	s_nop 0
	buffer_store_dword v73, off, s[64:67], 0 offset:292 ; 4-byte Folded Spill
	buffer_store_dword v74, off, s[64:67], 0 offset:296 ; 4-byte Folded Spill
	;; [unrolled: 1-line block ×3, first 2 shown]
	s_waitcnt lgkmcnt(2)
	v_mul_f64 v[174:175], v[66:67], v[114:115]
	v_mul_f64 v[172:173], v[18:19], v[98:99]
	v_add_f64 v[184:185], v[28:29], -v[16:17]
	v_add_f64 v[14:15], v[14:15], v[16:17]
	v_add_f64 v[186:187], v[16:17], -v[28:29]
	v_add_f64 v[14:15], v[14:15], v[28:29]
	v_fma_f64 v[56:57], v[58:59], v[72:73], v[176:177]
	v_mul_f64 v[58:59], v[20:21], v[98:99]
	v_mul_f64 v[176:177], v[64:65], v[114:115]
	v_fma_f64 v[64:65], v[64:65], v[112:113], -v[174:175]
	v_fma_f64 v[58:59], v[18:19], v[96:97], -v[58:59]
	buffer_store_dword v96, off, s[64:67], 0 offset:372 ; 4-byte Folded Spill
	s_nop 0
	buffer_store_dword v97, off, s[64:67], 0 offset:376 ; 4-byte Folded Spill
	buffer_store_dword v98, off, s[64:67], 0 offset:380 ; 4-byte Folded Spill
	buffer_store_dword v99, off, s[64:67], 0 offset:384 ; 4-byte Folded Spill
	buffer_store_dword v112, off, s[64:67], 0 offset:356 ; 4-byte Folded Spill
	s_nop 0
	buffer_store_dword v113, off, s[64:67], 0 offset:360 ; 4-byte Folded Spill
	buffer_store_dword v114, off, s[64:67], 0 offset:364 ; 4-byte Folded Spill
	buffer_store_dword v115, off, s[64:67], 0 offset:368 ; 4-byte Folded Spill
	;; [unrolled: 5-line block ×3, first 2 shown]
	v_mul_f64 v[18:19], v[54:55], v[118:119]
	v_add_f64 v[54:55], v[170:171], -v[56:57]
	v_add_f64 v[188:189], v[64:65], -v[36:37]
	s_waitcnt vmcnt(0) lgkmcnt(0)
	s_barrier
	v_fma_f64 v[172:173], v[20:21], v[96:97], v[172:173]
	v_fma_f64 v[66:67], v[66:67], v[112:113], v[176:177]
	v_mul_f64 v[20:21], v[62:63], v[94:95]
	v_add_f64 v[176:177], v[168:169], v[16:17]
	v_fma_f64 v[174:175], v[34:35], v[76:77], v[178:179]
	v_fma_f64 v[178:179], v[52:53], v[116:117], -v[18:19]
	v_mul_f64 v[18:19], v[162:163], v[110:111]
	v_mul_f64 v[52:53], v[160:161], v[110:111]
	;; [unrolled: 1-line block ×3, first 2 shown]
	v_fma_f64 v[182:183], v[60:61], v[92:93], -v[20:21]
	v_fma_f64 v[20:21], v[176:177], -0.5, v[6:7]
	v_add_f64 v[60:61], v[22:23], v[28:29]
	v_add_f64 v[176:177], v[22:23], -v[168:169]
	v_fma_f64 v[160:161], v[160:161], v[108:109], -v[18:19]
	v_fma_f64 v[162:163], v[162:163], v[108:109], v[52:53]
	v_mul_f64 v[18:19], v[166:167], v[106:107]
	v_fma_f64 v[62:63], v[62:63], v[92:93], v[34:35]
	v_mul_f64 v[34:35], v[164:165], v[106:107]
	v_fma_f64 v[52:53], v[32:33], s[2:3], v[20:21]
	v_fma_f64 v[6:7], v[60:61], -0.5, v[6:7]
	v_add_f64 v[60:61], v[170:171], v[56:57]
	v_fma_f64 v[20:21], v[32:33], s[16:17], v[20:21]
	v_fma_f64 v[164:165], v[164:165], v[104:105], -v[18:19]
	v_fma_f64 v[166:167], v[166:167], v[104:105], v[34:35]
	v_fma_f64 v[18:19], v[54:55], s[10:11], v[52:53]
	v_add_f64 v[52:53], v[8:9], v[38:39]
	v_add_f64 v[34:35], v[176:177], v[184:185]
	v_fma_f64 v[176:177], v[54:55], s[16:17], v[6:7]
	v_add_f64 v[184:185], v[168:169], -v[22:23]
	v_fma_f64 v[6:7], v[54:55], s[2:3], v[6:7]
	v_fma_f64 v[60:61], v[60:61], -0.5, v[8:9]
	v_add_f64 v[22:23], v[22:23], -v[28:29]
	v_fma_f64 v[20:21], v[54:55], s[18:19], v[20:21]
	v_add_f64 v[52:53], v[52:53], v[170:171]
	v_add_f64 v[168:169], v[168:169], -v[16:17]
	v_fma_f64 v[28:29], v[32:33], s[10:11], v[176:177]
	v_add_f64 v[54:55], v[184:185], v[186:187]
	v_fma_f64 v[32:33], v[32:33], s[18:19], v[6:7]
	v_add_f64 v[184:185], v[38:39], v[30:31]
	v_fma_f64 v[176:177], v[22:23], s[16:17], v[60:61]
	v_fma_f64 v[6:7], v[34:35], s[20:21], v[18:19]
	v_add_f64 v[52:53], v[52:53], v[56:57]
	v_fma_f64 v[18:19], v[34:35], s[20:21], v[20:21]
	v_add_f64 v[34:35], v[38:39], -v[170:171]
	v_fma_f64 v[28:29], v[54:55], s[20:21], v[28:29]
	v_fma_f64 v[32:33], v[54:55], s[20:21], v[32:33]
	v_fma_f64 v[8:9], v[184:185], -0.5, v[8:9]
	v_add_f64 v[54:55], v[10:11], v[48:49]
	v_fma_f64 v[20:21], v[168:169], s[18:19], v[176:177]
	v_add_f64 v[16:17], v[52:53], v[30:31]
	v_add_f64 v[52:53], v[30:31], -v[56:57]
	v_fma_f64 v[60:61], v[22:23], s[2:3], v[60:61]
	v_add_f64 v[176:177], v[58:59], v[64:65]
	v_add_f64 v[38:39], v[170:171], -v[38:39]
	v_fma_f64 v[184:185], v[168:169], s[2:3], v[8:9]
	v_add_f64 v[30:31], v[56:57], -v[30:31]
	v_fma_f64 v[8:9], v[168:169], s[16:17], v[8:9]
	v_add_f64 v[170:171], v[48:49], v[36:37]
	v_add_f64 v[34:35], v[34:35], v[52:53]
	;; [unrolled: 1-line block ×3, first 2 shown]
	v_fma_f64 v[54:55], v[168:169], s[10:11], v[60:61]
	v_fma_f64 v[56:57], v[176:177], -0.5, v[10:11]
	v_add_f64 v[60:61], v[50:51], -v[174:175]
	v_fma_f64 v[168:169], v[22:23], s[18:19], v[184:185]
	v_add_f64 v[38:39], v[38:39], v[30:31]
	v_fma_f64 v[22:23], v[22:23], s[10:11], v[8:9]
	v_fma_f64 v[8:9], v[34:35], s[20:21], v[20:21]
	v_add_f64 v[52:53], v[52:53], v[64:65]
	v_fma_f64 v[20:21], v[34:35], s[20:21], v[54:55]
	v_add_f64 v[176:177], v[172:173], -v[66:67]
	v_fma_f64 v[54:55], v[60:61], s[2:3], v[56:57]
	v_fma_f64 v[56:57], v[60:61], s[16:17], v[56:57]
	;; [unrolled: 1-line block ×4, first 2 shown]
	v_fma_f64 v[22:23], v[170:171], -0.5, v[10:11]
	v_add_f64 v[10:11], v[52:53], v[36:37]
	v_add_f64 v[38:39], v[48:49], -v[58:59]
	v_add_f64 v[52:53], v[36:37], -v[64:65]
	v_fma_f64 v[54:55], v[176:177], s[10:11], v[54:55]
	v_add_f64 v[168:169], v[12:13], v[50:51]
	v_add_f64 v[170:171], v[172:173], v[66:67]
	v_add_f64 v[186:187], v[58:59], -v[48:49]
	v_fma_f64 v[184:185], v[176:177], s[16:17], v[22:23]
	v_fma_f64 v[22:23], v[176:177], s[2:3], v[22:23]
	v_add_f64 v[58:59], v[58:59], -v[64:65]
	v_add_f64 v[38:39], v[38:39], v[52:53]
	v_fma_f64 v[52:53], v[176:177], s[18:19], v[56:57]
	v_add_f64 v[56:57], v[168:169], v[172:173]
	v_fma_f64 v[168:169], v[170:171], -0.5, v[12:13]
	v_add_f64 v[170:171], v[48:49], -v[36:37]
	v_fma_f64 v[176:177], v[60:61], s[10:11], v[184:185]
	v_add_f64 v[184:185], v[186:187], v[188:189]
	v_fma_f64 v[22:23], v[60:61], s[18:19], v[22:23]
	v_fma_f64 v[36:37], v[38:39], s[20:21], v[54:55]
	v_add_f64 v[54:55], v[50:51], v[174:175]
	v_add_f64 v[64:65], v[182:183], v[160:161]
	v_fma_f64 v[48:49], v[38:39], s[20:21], v[52:53]
	v_add_f64 v[38:39], v[56:57], v[66:67]
	v_fma_f64 v[60:61], v[170:171], s[16:17], v[168:169]
	v_fma_f64 v[52:53], v[184:185], s[20:21], v[176:177]
	v_add_f64 v[176:177], v[50:51], -v[172:173]
	v_add_f64 v[186:187], v[174:175], -v[66:67]
	v_fma_f64 v[56:57], v[184:185], s[20:21], v[22:23]
	v_fma_f64 v[22:23], v[54:55], -0.5, v[12:13]
	v_fma_f64 v[64:65], v[64:65], -0.5, v[44:45]
	v_add_f64 v[184:185], v[180:181], -v[166:167]
	v_add_f64 v[12:13], v[38:39], v[174:175]
	v_fma_f64 v[38:39], v[58:59], s[18:19], v[60:61]
	v_add_f64 v[54:55], v[44:45], v[178:179]
	v_add_f64 v[60:61], v[176:177], v[186:187]
	v_fma_f64 v[168:169], v[170:171], s[2:3], v[168:169]
	v_fma_f64 v[176:177], v[58:59], s[2:3], v[22:23]
	v_add_f64 v[50:51], v[172:173], -v[50:51]
	v_add_f64 v[66:67], v[66:67], -v[174:175]
	v_fma_f64 v[22:23], v[58:59], s[16:17], v[22:23]
	v_fma_f64 v[172:173], v[184:185], s[2:3], v[64:65]
	v_add_f64 v[174:175], v[62:63], -v[162:163]
	v_add_f64 v[186:187], v[178:179], -v[182:183]
	;; [unrolled: 1-line block ×3, first 2 shown]
	v_add_f64 v[54:55], v[54:55], v[182:183]
	v_fma_f64 v[58:59], v[58:59], s[10:11], v[168:169]
	v_add_f64 v[66:67], v[50:51], v[66:67]
	v_fma_f64 v[22:23], v[170:171], s[10:11], v[22:23]
	;; [unrolled: 2-line block ×3, first 2 shown]
	v_fma_f64 v[176:177], v[170:171], s[18:19], v[176:177]
	v_add_f64 v[186:187], v[186:187], v[188:189]
	v_add_f64 v[170:171], v[54:55], v[160:161]
	v_fma_f64 v[50:51], v[60:61], s[20:21], v[58:59]
	v_fma_f64 v[38:39], v[60:61], s[20:21], v[38:39]
	;; [unrolled: 1-line block ×3, first 2 shown]
	v_add_f64 v[22:23], v[62:63], v[162:163]
	v_add_f64 v[188:189], v[46:47], v[180:181]
	v_fma_f64 v[168:169], v[168:169], -0.5, v[44:45]
	v_fma_f64 v[60:61], v[186:187], s[20:21], v[172:173]
	v_add_f64 v[172:173], v[180:181], v[166:167]
	v_fma_f64 v[54:55], v[66:67], s[20:21], v[176:177]
	v_add_f64 v[44:45], v[170:171], v[164:165]
	v_fma_f64 v[64:65], v[184:185], s[16:17], v[64:65]
	v_add_f64 v[170:171], v[182:183], -v[178:179]
	v_add_f64 v[176:177], v[160:161], -v[164:165]
	v_fma_f64 v[22:23], v[22:23], -0.5, v[46:47]
	v_add_f64 v[164:165], v[178:179], -v[164:165]
	v_add_f64 v[160:161], v[182:183], -v[160:161]
	v_fma_f64 v[46:47], v[172:173], -0.5, v[46:47]
	v_add_f64 v[172:173], v[188:189], v[62:63]
	v_fma_f64 v[66:67], v[174:175], s[16:17], v[168:169]
	v_fma_f64 v[64:65], v[174:175], s[18:19], v[64:65]
	v_add_f64 v[170:171], v[170:171], v[176:177]
	v_fma_f64 v[168:169], v[174:175], s[2:3], v[168:169]
	v_fma_f64 v[174:175], v[164:165], s[16:17], v[22:23]
	v_add_f64 v[176:177], v[180:181], -v[62:63]
	v_add_f64 v[178:179], v[166:167], -v[162:163]
	v_fma_f64 v[182:183], v[160:161], s[2:3], v[46:47]
	v_add_f64 v[62:63], v[62:63], -v[180:181]
	v_add_f64 v[180:181], v[162:163], -v[166:167]
	v_fma_f64 v[46:47], v[160:161], s[16:17], v[46:47]
	v_fma_f64 v[22:23], v[164:165], s[2:3], v[22:23]
	v_add_f64 v[162:163], v[172:173], v[162:163]
	v_fma_f64 v[172:173], v[160:161], s[18:19], v[174:175]
	v_add_f64 v[174:175], v[176:177], v[178:179]
	v_fma_f64 v[66:67], v[184:185], s[10:11], v[66:67]
	v_fma_f64 v[176:177], v[164:165], s[18:19], v[182:183]
	v_add_f64 v[178:179], v[62:63], v[180:181]
	v_fma_f64 v[168:169], v[184:185], s[18:19], v[168:169]
	v_fma_f64 v[180:181], v[164:165], s[10:11], v[46:47]
	;; [unrolled: 1-line block ×3, first 2 shown]
	v_add_f64 v[46:47], v[162:163], v[166:167]
	v_fma_f64 v[62:63], v[174:175], s[20:21], v[172:173]
	v_fma_f64 v[160:161], v[186:187], s[20:21], v[64:65]
	;; [unrolled: 1-line block ×7, first 2 shown]
	ds_write_b128 v1, v[14:17]
	ds_write_b128 v1, v[6:9] offset:816
	ds_write_b128 v1, v[28:31] offset:1632
	;; [unrolled: 1-line block ×3, first 2 shown]
	buffer_store_dword v1, off, s[64:67], 0 offset:268 ; 4-byte Folded Spill
	ds_write_b128 v1, v[18:21] offset:3264
	v_mul_u32_u24_e32 v1, 0xff, v3
	v_add_lshl_u32 v135, v1, v0, 4
	v_mad_legacy_u16 v0, v4, s22, v5
	v_lshlrev_b32_e32 v133, 4, v0
	ds_write_b128 v135, v[10:13]
	ds_write_b128 v135, v[36:39] offset:816
	ds_write_b128 v135, v[52:55] offset:1632
	;; [unrolled: 1-line block ×4, first 2 shown]
	ds_write_b128 v133, v[44:47]
	ds_write_b128 v133, v[60:63] offset:816
	ds_write_b128 v133, v[64:67] offset:1632
	;; [unrolled: 1-line block ×4, first 2 shown]
	s_waitcnt vmcnt(0) lgkmcnt(0)
	s_barrier
	ds_read_b128 v[168:171], v134
	ds_read_b128 v[164:167], v134 offset:1904
	ds_read_b128 v[64:67], v134 offset:4080
	;; [unrolled: 1-line block ×13, first 2 shown]
	v_cmp_gt_u16_e64 s[2:3], 17, v234
                                        ; implicit-def: $vgpr180_vgpr181
                                        ; implicit-def: $vgpr184_vgpr185
                                        ; implicit-def: $vgpr172_vgpr173
                                        ; implicit-def: $vgpr176_vgpr177
	s_and_saveexec_b64 s[10:11], s[2:3]
	s_cbranch_execz .LBB0_9
; %bb.8:
	ds_read_b128 v[160:163], v134 offset:3808
	ds_read_b128 v[24:27], v134 offset:7888
	ds_read_b128 v[68:71], v134 offset:11968
	ds_read_b128 v[180:183], v134 offset:16048
	ds_read_b128 v[184:187], v134 offset:20128
	ds_read_b128 v[172:175], v134 offset:24208
	ds_read_b128 v[176:179], v134 offset:28288
.LBB0_9:
	s_or_b64 exec, exec, s[10:11]
	v_mov_b32_e32 v17, s9
	s_movk_i32 s10, 0x60
	v_mov_b32_e32 v16, s8
	v_mad_u64_u32 v[16:17], s[10:11], v234, s10, v[16:17]
	s_movk_i32 s10, 0x2ca0
	global_load_dwordx4 v[72:75], v[16:17], off offset:3856
	global_load_dwordx4 v[76:79], v[16:17], off offset:3840
	;; [unrolled: 1-line block ×4, first 2 shown]
	s_mov_b32 s18, 0xe976ee23
	s_mov_b32 s16, 0x429ad128
	;; [unrolled: 1-line block ×16, first 2 shown]
	s_waitcnt vmcnt(0) lgkmcnt(11)
	v_mul_f64 v[18:19], v[66:67], v[34:35]
	v_fma_f64 v[30:31], v[64:65], v[32:33], -v[18:19]
	v_mul_f64 v[18:19], v[64:65], v[34:35]
	buffer_store_dword v32, off, s[64:67], 0 offset:156 ; 4-byte Folded Spill
	s_nop 0
	buffer_store_dword v33, off, s[64:67], 0 offset:160 ; 4-byte Folded Spill
	buffer_store_dword v34, off, s[64:67], 0 offset:164 ; 4-byte Folded Spill
	buffer_store_dword v35, off, s[64:67], 0 offset:168 ; 4-byte Folded Spill
	v_fma_f64 v[188:189], v[66:67], v[32:33], v[18:19]
	s_waitcnt lgkmcnt(9)
	v_mul_f64 v[18:19], v[58:59], v[82:83]
	v_fma_f64 v[32:33], v[56:57], v[80:81], -v[18:19]
	v_mul_f64 v[18:19], v[56:57], v[82:83]
	buffer_store_dword v80, off, s[64:67], 0 offset:124 ; 4-byte Folded Spill
	s_nop 0
	buffer_store_dword v81, off, s[64:67], 0 offset:128 ; 4-byte Folded Spill
	buffer_store_dword v82, off, s[64:67], 0 offset:132 ; 4-byte Folded Spill
	buffer_store_dword v83, off, s[64:67], 0 offset:136 ; 4-byte Folded Spill
	v_fma_f64 v[190:191], v[58:59], v[80:81], v[18:19]
	s_waitcnt lgkmcnt(7)
	;; [unrolled: 10-line block ×3, first 2 shown]
	v_mul_f64 v[18:19], v[50:51], v[74:75]
	v_fma_f64 v[194:195], v[48:49], v[72:73], -v[18:19]
	v_mul_f64 v[18:19], v[48:49], v[74:75]
	buffer_store_dword v72, off, s[64:67], 0 offset:92 ; 4-byte Folded Spill
	s_nop 0
	buffer_store_dword v73, off, s[64:67], 0 offset:96 ; 4-byte Folded Spill
	buffer_store_dword v74, off, s[64:67], 0 offset:100 ; 4-byte Folded Spill
	;; [unrolled: 1-line block ×3, first 2 shown]
	v_fma_f64 v[196:197], v[50:51], v[72:73], v[18:19]
	global_load_dwordx4 v[48:51], v[16:17], off offset:3888
	global_load_dwordx4 v[52:55], v[16:17], off offset:3872
	s_waitcnt vmcnt(0) lgkmcnt(3)
	v_mul_f64 v[18:19], v[46:47], v[54:55]
	v_fma_f64 v[198:199], v[44:45], v[52:53], -v[18:19]
	v_mul_f64 v[18:19], v[44:45], v[54:55]
	buffer_store_dword v52, off, s[64:67], 0 offset:220 ; 4-byte Folded Spill
	s_nop 0
	buffer_store_dword v53, off, s[64:67], 0 offset:224 ; 4-byte Folded Spill
	buffer_store_dword v54, off, s[64:67], 0 offset:228 ; 4-byte Folded Spill
	;; [unrolled: 1-line block ×3, first 2 shown]
	v_fma_f64 v[200:201], v[46:47], v[52:53], v[18:19]
	s_waitcnt lgkmcnt(1)
	v_mul_f64 v[18:19], v[38:39], v[50:51]
	v_fma_f64 v[202:203], v[36:37], v[48:49], -v[18:19]
	v_mul_f64 v[18:19], v[36:37], v[50:51]
	buffer_store_dword v48, off, s[64:67], 0 offset:204 ; 4-byte Folded Spill
	s_nop 0
	buffer_store_dword v49, off, s[64:67], 0 offset:208 ; 4-byte Folded Spill
	buffer_store_dword v50, off, s[64:67], 0 offset:212 ; 4-byte Folded Spill
	buffer_store_dword v51, off, s[64:67], 0 offset:216 ; 4-byte Folded Spill
	v_fma_f64 v[36:37], v[38:39], v[48:49], v[18:19]
	v_add_co_u32_e32 v38, vcc, s10, v16
	v_addc_co_u32_e32 v39, vcc, 0, v17, vcc
	global_load_dwordx4 v[44:47], v[38:39], off offset:3856
	global_load_dwordx4 v[48:51], v[38:39], off offset:3840
	;; [unrolled: 1-line block ×4, first 2 shown]
	s_mov_b32 s10, 0x37e14327
	s_mov_b32 s11, 0x3fe948f6
	s_waitcnt vmcnt(0)
	v_mul_f64 v[16:17], v[62:63], v[58:59]
	v_mul_f64 v[18:19], v[60:61], v[58:59]
	v_fma_f64 v[16:17], v[60:61], v[56:57], -v[16:17]
	buffer_store_dword v56, off, s[64:67], 0 offset:252 ; 4-byte Folded Spill
	s_nop 0
	buffer_store_dword v57, off, s[64:67], 0 offset:256 ; 4-byte Folded Spill
	buffer_store_dword v58, off, s[64:67], 0 offset:260 ; 4-byte Folded Spill
	buffer_store_dword v59, off, s[64:67], 0 offset:264 ; 4-byte Folded Spill
	v_fma_f64 v[28:29], v[62:63], v[56:57], v[18:19]
	v_mul_f64 v[18:19], v[22:23], v[54:55]
	v_fma_f64 v[18:19], v[20:21], v[52:53], -v[18:19]
	v_mul_f64 v[20:21], v[20:21], v[54:55]
	buffer_store_dword v52, off, s[64:67], 0 offset:188 ; 4-byte Folded Spill
	s_nop 0
	buffer_store_dword v53, off, s[64:67], 0 offset:192 ; 4-byte Folded Spill
	buffer_store_dword v54, off, s[64:67], 0 offset:196 ; 4-byte Folded Spill
	buffer_store_dword v55, off, s[64:67], 0 offset:200 ; 4-byte Folded Spill
	v_fma_f64 v[22:23], v[22:23], v[52:53], v[20:21]
	v_mul_f64 v[20:21], v[14:15], v[50:51]
	v_fma_f64 v[20:21], v[12:13], v[48:49], -v[20:21]
	v_mul_f64 v[12:13], v[12:13], v[50:51]
	buffer_store_dword v48, off, s[64:67], 0 offset:172 ; 4-byte Folded Spill
	s_nop 0
	buffer_store_dword v49, off, s[64:67], 0 offset:176 ; 4-byte Folded Spill
	buffer_store_dword v50, off, s[64:67], 0 offset:180 ; 4-byte Folded Spill
	buffer_store_dword v51, off, s[64:67], 0 offset:184 ; 4-byte Folded Spill
	v_fma_f64 v[12:13], v[14:15], v[48:49], v[12:13]
	v_mul_f64 v[14:15], v[2:3], v[46:47]
	v_fma_f64 v[14:15], v[0:1], v[44:45], -v[14:15]
	v_mul_f64 v[0:1], v[0:1], v[46:47]
	buffer_store_dword v44, off, s[64:67], 0 offset:140 ; 4-byte Folded Spill
	s_nop 0
	buffer_store_dword v45, off, s[64:67], 0 offset:144 ; 4-byte Folded Spill
	buffer_store_dword v46, off, s[64:67], 0 offset:148 ; 4-byte Folded Spill
	;; [unrolled: 1-line block ×3, first 2 shown]
	v_fma_f64 v[0:1], v[2:3], v[44:45], v[0:1]
	global_load_dwordx4 v[44:47], v[38:39], off offset:3888
	global_load_dwordx4 v[48:51], v[38:39], off offset:3872
	s_waitcnt vmcnt(0)
	v_mul_f64 v[2:3], v[10:11], v[50:51]
	v_fma_f64 v[2:3], v[8:9], v[48:49], -v[2:3]
	v_mul_f64 v[8:9], v[8:9], v[50:51]
	buffer_store_dword v48, off, s[64:67], 0 offset:236 ; 4-byte Folded Spill
	s_nop 0
	buffer_store_dword v49, off, s[64:67], 0 offset:240 ; 4-byte Folded Spill
	buffer_store_dword v50, off, s[64:67], 0 offset:244 ; 4-byte Folded Spill
	;; [unrolled: 1-line block ×3, first 2 shown]
	v_fma_f64 v[8:9], v[10:11], v[48:49], v[8:9]
	s_waitcnt lgkmcnt(0)
	v_mul_f64 v[10:11], v[6:7], v[46:47]
	v_fma_f64 v[10:11], v[4:5], v[44:45], -v[10:11]
	v_mul_f64 v[4:5], v[4:5], v[46:47]
	buffer_store_dword v44, off, s[64:67], 0 offset:76 ; 4-byte Folded Spill
	s_nop 0
	buffer_store_dword v45, off, s[64:67], 0 offset:80 ; 4-byte Folded Spill
	buffer_store_dword v46, off, s[64:67], 0 offset:84 ; 4-byte Folded Spill
	;; [unrolled: 1-line block ×3, first 2 shown]
	v_fma_f64 v[4:5], v[6:7], v[44:45], v[4:5]
	v_subrev_u32_e32 v6, 17, v234
	v_cndmask_b32_e64 v6, v6, v204, s[2:3]
	v_mul_hi_i32_i24_e32 v7, 0x60, v6
	v_mul_i32_i24_e32 v6, 0x60, v6
	v_add_co_u32_e32 v204, vcc, s8, v6
	v_mov_b32_e32 v6, s9
	v_addc_co_u32_e32 v205, vcc, v6, v7, vcc
	global_load_dwordx4 v[44:47], v[204:205], off offset:3856
	global_load_dwordx4 v[48:51], v[204:205], off offset:3840
	;; [unrolled: 1-line block ×4, first 2 shown]
	s_mov_b32 s8, 0x36b3c0b5
	s_mov_b32 s9, 0x3fac98ee
	s_waitcnt vmcnt(0)
	v_mul_f64 v[6:7], v[26:27], v[58:59]
	v_fma_f64 v[6:7], v[24:25], v[56:57], -v[6:7]
	v_mul_f64 v[24:25], v[24:25], v[58:59]
	buffer_store_dword v56, off, s[64:67], 0 offset:436 ; 4-byte Folded Spill
	s_nop 0
	buffer_store_dword v57, off, s[64:67], 0 offset:440 ; 4-byte Folded Spill
	buffer_store_dword v58, off, s[64:67], 0 offset:444 ; 4-byte Folded Spill
	;; [unrolled: 1-line block ×3, first 2 shown]
	v_fma_f64 v[38:39], v[26:27], v[56:57], v[24:25]
	v_mul_f64 v[24:25], v[70:71], v[54:55]
	v_mul_f64 v[26:27], v[68:69], v[54:55]
	v_fma_f64 v[24:25], v[68:69], v[52:53], -v[24:25]
	buffer_store_dword v52, off, s[64:67], 0 offset:420 ; 4-byte Folded Spill
	s_nop 0
	buffer_store_dword v53, off, s[64:67], 0 offset:424 ; 4-byte Folded Spill
	buffer_store_dword v54, off, s[64:67], 0 offset:428 ; 4-byte Folded Spill
	buffer_store_dword v55, off, s[64:67], 0 offset:432 ; 4-byte Folded Spill
	v_fma_f64 v[68:69], v[70:71], v[52:53], v[26:27]
	v_mul_f64 v[26:27], v[182:183], v[50:51]
	v_mul_f64 v[70:71], v[180:181], v[50:51]
	v_fma_f64 v[26:27], v[180:181], v[48:49], -v[26:27]
	buffer_store_dword v48, off, s[64:67], 0 offset:404 ; 4-byte Folded Spill
	s_nop 0
	buffer_store_dword v49, off, s[64:67], 0 offset:408 ; 4-byte Folded Spill
	buffer_store_dword v50, off, s[64:67], 0 offset:412 ; 4-byte Folded Spill
	;; [unrolled: 1-line block ×3, first 2 shown]
	v_mul_f64 v[180:181], v[186:187], v[46:47]
	v_fma_f64 v[180:181], v[184:185], v[44:45], -v[180:181]
	v_fma_f64 v[70:71], v[182:183], v[48:49], v[70:71]
	v_mul_f64 v[182:183], v[184:185], v[46:47]
	buffer_store_dword v44, off, s[64:67], 0 offset:388 ; 4-byte Folded Spill
	s_nop 0
	buffer_store_dword v45, off, s[64:67], 0 offset:392 ; 4-byte Folded Spill
	buffer_store_dword v46, off, s[64:67], 0 offset:396 ; 4-byte Folded Spill
	;; [unrolled: 1-line block ×3, first 2 shown]
	v_fma_f64 v[182:183], v[186:187], v[44:45], v[182:183]
	global_load_dwordx4 v[44:47], v[204:205], off offset:3888
	global_load_dwordx4 v[48:51], v[204:205], off offset:3872
	v_add_f64 v[186:187], v[32:33], v[198:199]
	v_add_f64 v[32:33], v[32:33], -v[198:199]
	v_add_f64 v[198:199], v[34:35], v[194:195]
	v_add_f64 v[34:35], v[194:195], -v[34:35]
	v_add_f64 v[208:209], v[198:199], -v[186:187]
	;; [unrolled: 1-line block ×3, first 2 shown]
	s_waitcnt vmcnt(0)
	v_mul_f64 v[184:185], v[174:175], v[50:51]
	v_fma_f64 v[232:233], v[172:173], v[48:49], -v[184:185]
	v_mul_f64 v[172:173], v[172:173], v[50:51]
	buffer_store_dword v48, off, s[64:67], 0 offset:468 ; 4-byte Folded Spill
	s_nop 0
	buffer_store_dword v49, off, s[64:67], 0 offset:472 ; 4-byte Folded Spill
	buffer_store_dword v50, off, s[64:67], 0 offset:476 ; 4-byte Folded Spill
	;; [unrolled: 1-line block ×3, first 2 shown]
	v_add_f64 v[184:185], v[188:189], v[36:37]
	v_add_f64 v[36:37], v[188:189], -v[36:37]
	v_add_f64 v[188:189], v[190:191], v[200:201]
	v_add_f64 v[190:191], v[190:191], -v[200:201]
	;; [unrolled: 2-line block ×4, first 2 shown]
	v_add_f64 v[206:207], v[184:185], -v[200:201]
	v_add_f64 v[188:189], v[200:201], -v[188:189]
	v_add_f64 v[184:185], v[34:35], v[32:33]
	v_add_f64 v[212:213], v[192:193], -v[190:191]
	v_add_f64 v[196:197], v[200:201], v[196:197]
	v_mul_f64 v[200:201], v[210:211], s[18:19]
	v_fma_f64 v[172:173], v[174:175], v[48:49], v[172:173]
	v_mul_f64 v[174:175], v[178:179], v[46:47]
	v_fma_f64 v[174:175], v[176:177], v[44:45], -v[174:175]
	v_mul_f64 v[176:177], v[176:177], v[46:47]
	buffer_store_dword v44, off, s[64:67], 0 offset:452 ; 4-byte Folded Spill
	s_nop 0
	buffer_store_dword v45, off, s[64:67], 0 offset:456 ; 4-byte Folded Spill
	buffer_store_dword v46, off, s[64:67], 0 offset:460 ; 4-byte Folded Spill
	;; [unrolled: 1-line block ×3, first 2 shown]
	v_fma_f64 v[176:177], v[178:179], v[44:45], v[176:177]
	v_add_f64 v[178:179], v[30:31], v[202:203]
	v_add_f64 v[30:31], v[30:31], -v[202:203]
	v_add_f64 v[194:195], v[186:187], v[178:179]
	v_add_f64 v[202:203], v[186:187], -v[178:179]
	v_add_f64 v[178:179], v[178:179], -v[198:199]
	v_add_f64 v[186:187], v[192:193], v[190:191]
	v_add_f64 v[32:33], v[32:33], -v[30:31]
	v_add_f64 v[34:35], v[30:31], -v[34:35]
	v_add_f64 v[192:193], v[36:37], -v[192:193]
	v_add_f64 v[190:191], v[190:191], -v[36:37]
	v_add_f64 v[194:195], v[198:199], v[194:195]
	v_add_f64 v[30:31], v[184:185], v[30:31]
	v_mul_f64 v[198:199], v[188:189], s[8:9]
	v_add_f64 v[36:37], v[186:187], v[36:37]
	v_add_f64 v[186:187], v[170:171], v[196:197]
	v_mul_f64 v[170:171], v[206:207], s[10:11]
	v_mul_f64 v[210:211], v[32:33], s[16:17]
	;; [unrolled: 1-line block ×3, first 2 shown]
	v_add_f64 v[184:185], v[168:169], v[194:195]
	v_mul_f64 v[168:169], v[178:179], s[10:11]
	v_mul_f64 v[178:179], v[208:209], s[8:9]
	v_fma_f64 v[198:199], v[204:205], s[22:23], -v[198:199]
	v_fma_f64 v[196:197], v[196:197], s[20:21], v[186:187]
	v_fma_f64 v[188:189], v[188:189], s[8:9], v[170:171]
	v_fma_f64 v[170:171], v[204:205], s[26:27], -v[170:171]
	v_fma_f64 v[32:33], v[32:33], s[16:17], -v[200:201]
	v_fma_f64 v[194:195], v[194:195], s[20:21], v[184:185]
	v_fma_f64 v[208:209], v[208:209], s[8:9], v[168:169]
	v_fma_f64 v[178:179], v[202:203], s[22:23], -v[178:179]
	v_fma_f64 v[168:169], v[202:203], s[26:27], -v[168:169]
	v_fma_f64 v[202:203], v[34:35], s[28:29], v[200:201]
	v_fma_f64 v[34:35], v[34:35], s[30:31], -v[210:211]
	v_mul_f64 v[212:213], v[190:191], s[16:17]
	v_fma_f64 v[204:205], v[192:193], s[28:29], v[206:207]
	v_fma_f64 v[190:191], v[190:191], s[16:17], -v[206:207]
	v_add_f64 v[200:201], v[208:209], v[194:195]
	v_add_f64 v[206:207], v[188:189], v[196:197]
	;; [unrolled: 1-line block ×6, first 2 shown]
	v_fma_f64 v[194:195], v[30:31], s[24:25], v[202:203]
	v_fma_f64 v[32:33], v[30:31], s[24:25], v[32:33]
	;; [unrolled: 1-line block ×3, first 2 shown]
	v_fma_f64 v[192:193], v[192:193], s[30:31], -v[212:213]
	v_fma_f64 v[196:197], v[36:37], s[24:25], v[204:205]
	v_fma_f64 v[190:191], v[36:37], s[24:25], v[190:191]
	v_add_f64 v[246:247], v[206:207], -v[194:195]
	v_add_f64 v[230:231], v[32:33], v[188:189]
	v_add_f64 v[250:251], v[170:171], -v[30:31]
	v_add_f64 v[226:227], v[188:189], -v[32:33]
	v_add_f64 v[222:223], v[30:31], v[170:171]
	v_add_f64 v[30:31], v[16:17], v[10:11]
	;; [unrolled: 1-line block ×3, first 2 shown]
	v_add_f64 v[10:11], v[16:17], -v[10:11]
	v_add_f64 v[4:5], v[28:29], -v[4:5]
	v_add_f64 v[16:17], v[18:19], v[2:3]
	v_add_f64 v[28:29], v[22:23], v[8:9]
	v_fma_f64 v[34:35], v[36:37], s[24:25], v[192:193]
	v_add_f64 v[2:3], v[18:19], -v[2:3]
	v_add_f64 v[8:9], v[22:23], -v[8:9]
	v_add_f64 v[18:19], v[20:21], v[14:15]
	v_add_f64 v[22:23], v[12:13], v[0:1]
	v_add_f64 v[14:15], v[14:15], -v[20:21]
	v_add_f64 v[0:1], v[0:1], -v[12:13]
	v_add_f64 v[12:13], v[16:17], v[30:31]
	v_add_f64 v[20:21], v[28:29], v[32:33]
	;; [unrolled: 1-line block ×4, first 2 shown]
	v_add_f64 v[228:229], v[178:179], -v[190:191]
	v_add_f64 v[224:225], v[190:191], v[178:179]
	v_add_f64 v[220:221], v[168:169], -v[34:35]
	v_add_f64 v[188:189], v[200:201], -v[196:197]
	v_add_f64 v[34:35], v[16:17], -v[30:31]
	v_add_f64 v[36:37], v[28:29], -v[32:33]
	v_add_f64 v[30:31], v[30:31], -v[18:19]
	v_add_f64 v[32:33], v[32:33], -v[22:23]
	v_add_f64 v[16:17], v[18:19], -v[16:17]
	v_add_f64 v[28:29], v[22:23], -v[28:29]
	v_add_f64 v[168:169], v[14:15], v[2:3]
	v_add_f64 v[170:171], v[0:1], v[8:9]
	v_add_f64 v[178:179], v[14:15], -v[2:3]
	v_add_f64 v[196:197], v[0:1], -v[8:9]
	;; [unrolled: 1-line block ×4, first 2 shown]
	v_add_f64 v[12:13], v[18:19], v[12:13]
	v_add_f64 v[18:19], v[22:23], v[20:21]
	v_add_f64 v[190:191], v[194:195], v[206:207]
	v_add_f64 v[14:15], v[10:11], -v[14:15]
	v_add_f64 v[0:1], v[4:5], -v[0:1]
	v_add_f64 v[10:11], v[168:169], v[10:11]
	v_add_f64 v[4:5], v[170:171], v[4:5]
	v_mul_f64 v[20:21], v[30:31], s[10:11]
	v_add_f64 v[192:193], v[164:165], v[12:13]
	v_add_f64 v[194:195], v[166:167], v[18:19]
	v_mul_f64 v[22:23], v[32:33], s[10:11]
	v_mul_f64 v[30:31], v[16:17], s[8:9]
	;; [unrolled: 1-line block ×7, first 2 shown]
	v_fma_f64 v[12:13], v[12:13], s[20:21], v[192:193]
	v_fma_f64 v[18:19], v[18:19], s[20:21], v[194:195]
	;; [unrolled: 1-line block ×4, first 2 shown]
	v_fma_f64 v[30:31], v[34:35], s[22:23], -v[30:31]
	v_fma_f64 v[32:33], v[36:37], s[22:23], -v[32:33]
	;; [unrolled: 1-line block ×4, first 2 shown]
	v_fma_f64 v[34:35], v[14:15], s[28:29], v[164:165]
	v_fma_f64 v[36:37], v[0:1], s[28:29], v[166:167]
	v_fma_f64 v[2:3], v[2:3], s[16:17], -v[164:165]
	v_fma_f64 v[8:9], v[8:9], s[16:17], -v[166:167]
	;; [unrolled: 1-line block ×4, first 2 shown]
	v_add_f64 v[16:17], v[16:17], v[12:13]
	v_add_f64 v[28:29], v[28:29], v[18:19]
	;; [unrolled: 1-line block ×6, first 2 shown]
	v_fma_f64 v[20:21], v[10:11], s[24:25], v[34:35]
	v_fma_f64 v[2:3], v[10:11], s[24:25], v[2:3]
	;; [unrolled: 1-line block ×6, first 2 shown]
	v_add_f64 v[14:15], v[68:69], -v[172:173]
	v_add_f64 v[4:5], v[6:7], -v[174:175]
	;; [unrolled: 1-line block ×3, first 2 shown]
	v_add_f64 v[206:207], v[2:3], v[32:33]
	v_add_f64 v[204:205], v[30:31], -v[8:9]
	v_add_f64 v[202:203], v[18:19], -v[10:11]
	v_add_f64 v[200:201], v[0:1], v[12:13]
	v_add_f64 v[208:209], v[8:9], v[30:31]
	v_add_f64 v[210:211], v[32:33], -v[2:3]
	v_add_f64 v[212:213], v[12:13], -v[0:1]
	v_add_f64 v[214:215], v[10:11], v[18:19]
	v_add_f64 v[0:1], v[6:7], v[174:175]
	;; [unrolled: 1-line block ×6, first 2 shown]
	v_add_f64 v[216:217], v[16:17], -v[22:23]
	v_add_f64 v[218:219], v[20:21], v[28:29]
	v_add_f64 v[12:13], v[24:25], -v[232:233]
	v_add_f64 v[16:17], v[26:27], v[180:181]
	v_add_f64 v[18:19], v[70:71], v[182:183]
	v_add_f64 v[20:21], v[180:181], -v[26:27]
	v_add_f64 v[22:23], v[182:183], -v[70:71]
	v_add_f64 v[24:25], v[8:9], v[0:1]
	v_add_f64 v[26:27], v[10:11], v[2:3]
	v_add_f64 v[6:7], v[38:39], -v[176:177]
	v_add_f64 v[28:29], v[8:9], -v[0:1]
	;; [unrolled: 1-line block ×7, first 2 shown]
	v_add_f64 v[32:33], v[20:21], v[12:13]
	v_add_f64 v[34:35], v[22:23], v[14:15]
	v_add_f64 v[36:37], v[20:21], -v[12:13]
	v_add_f64 v[38:39], v[22:23], -v[14:15]
	v_add_f64 v[16:17], v[16:17], v[24:25]
	v_add_f64 v[18:19], v[18:19], v[26:27]
	v_add_f64 v[20:21], v[4:5], -v[20:21]
	v_add_f64 v[22:23], v[6:7], -v[22:23]
	;; [unrolled: 1-line block ×4, first 2 shown]
	v_add_f64 v[4:5], v[32:33], v[4:5]
	v_add_f64 v[6:7], v[34:35], v[6:7]
	;; [unrolled: 1-line block ×4, first 2 shown]
	v_mul_f64 v[24:25], v[8:9], s[8:9]
	v_mul_f64 v[26:27], v[10:11], s[8:9]
	;; [unrolled: 1-line block ×8, first 2 shown]
	v_fma_f64 v[16:17], v[16:17], s[20:21], v[232:233]
	v_fma_f64 v[18:19], v[18:19], s[20:21], v[234:235]
	v_fma_f64 v[24:25], v[28:29], s[22:23], -v[24:25]
	v_fma_f64 v[26:27], v[30:31], s[22:23], -v[26:27]
	;; [unrolled: 1-line block ×4, first 2 shown]
	v_fma_f64 v[8:9], v[8:9], s[8:9], v[0:1]
	v_fma_f64 v[10:11], v[10:11], s[8:9], v[2:3]
	v_fma_f64 v[0:1], v[28:29], s[26:27], -v[0:1]
	v_fma_f64 v[2:3], v[30:31], s[26:27], -v[2:3]
	v_fma_f64 v[28:29], v[20:21], s[28:29], v[32:33]
	v_fma_f64 v[30:31], v[22:23], s[28:29], v[34:35]
	v_fma_f64 v[20:21], v[20:21], s[30:31], -v[36:37]
	v_fma_f64 v[22:23], v[22:23], s[30:31], -v[38:39]
	v_add_f64 v[24:25], v[24:25], v[16:17]
	v_add_f64 v[26:27], v[26:27], v[18:19]
	v_fma_f64 v[12:13], v[4:5], s[24:25], v[12:13]
	v_fma_f64 v[14:15], v[6:7], s[24:25], v[14:15]
	v_add_f64 v[8:9], v[8:9], v[16:17]
	v_add_f64 v[10:11], v[10:11], v[18:19]
	;; [unrolled: 1-line block ×4, first 2 shown]
	v_fma_f64 v[16:17], v[4:5], s[24:25], v[28:29]
	v_fma_f64 v[18:19], v[6:7], s[24:25], v[30:31]
	;; [unrolled: 1-line block ×4, first 2 shown]
	v_add_f64 v[20:21], v[24:25], -v[14:15]
	v_add_f64 v[22:23], v[12:13], v[26:27]
	buffer_store_dword v20, off, s[64:67], 0 offset:12 ; 4-byte Folded Spill
	s_nop 0
	buffer_store_dword v21, off, s[64:67], 0 offset:16 ; 4-byte Folded Spill
	buffer_store_dword v22, off, s[64:67], 0 offset:20 ; 4-byte Folded Spill
	;; [unrolled: 1-line block ×3, first 2 shown]
	v_add_f64 v[240:241], v[6:7], v[0:1]
	v_add_f64 v[242:243], v[2:3], -v[4:5]
	v_add_f64 v[20:21], v[14:15], v[24:25]
	v_add_f64 v[22:23], v[26:27], -v[12:13]
	v_add_f64 v[0:1], v[0:1], -v[6:7]
	v_add_f64 v[2:3], v[4:5], v[2:3]
	buffer_store_dword v20, off, s[64:67], 0 offset:28 ; 4-byte Folded Spill
	s_nop 0
	buffer_store_dword v21, off, s[64:67], 0 offset:32 ; 4-byte Folded Spill
	buffer_store_dword v22, off, s[64:67], 0 offset:36 ; 4-byte Folded Spill
	;; [unrolled: 1-line block ×4, first 2 shown]
	s_nop 0
	buffer_store_dword v1, off, s[64:67], 0 offset:48 ; 4-byte Folded Spill
	buffer_store_dword v2, off, s[64:67], 0 offset:52 ; 4-byte Folded Spill
	;; [unrolled: 1-line block ×3, first 2 shown]
	v_add_f64 v[236:237], v[18:19], v[8:9]
	v_add_f64 v[238:239], v[10:11], -v[16:17]
	v_add_f64 v[0:1], v[8:9], -v[18:19]
	v_add_f64 v[2:3], v[16:17], v[10:11]
	buffer_store_dword v0, off, s[64:67], 0 offset:60 ; 4-byte Folded Spill
	s_nop 0
	buffer_store_dword v1, off, s[64:67], 0 offset:64 ; 4-byte Folded Spill
	buffer_store_dword v2, off, s[64:67], 0 offset:68 ; 4-byte Folded Spill
	;; [unrolled: 1-line block ×3, first 2 shown]
	ds_write_b128 v134, v[184:187]
	ds_write_b128 v134, v[244:247] offset:4080
	ds_write_b128 v134, v[248:251] offset:8160
	;; [unrolled: 1-line block ×13, first 2 shown]
	s_and_saveexec_b64 s[8:9], s[2:3]
	s_cbranch_execz .LBB0_11
; %bb.10:
	ds_write_b128 v134, v[232:235] offset:3808
	ds_write_b128 v134, v[236:239] offset:7888
	;; [unrolled: 1-line block ×3, first 2 shown]
	buffer_load_dword v0, off, s[64:67], 0 offset:12 ; 4-byte Folded Reload
	buffer_load_dword v1, off, s[64:67], 0 offset:16 ; 4-byte Folded Reload
	buffer_load_dword v2, off, s[64:67], 0 offset:20 ; 4-byte Folded Reload
	buffer_load_dword v3, off, s[64:67], 0 offset:24 ; 4-byte Folded Reload
	s_waitcnt vmcnt(0)
	ds_write_b128 v134, v[0:3] offset:16048
	buffer_load_dword v0, off, s[64:67], 0 offset:28 ; 4-byte Folded Reload
	buffer_load_dword v1, off, s[64:67], 0 offset:32 ; 4-byte Folded Reload
	buffer_load_dword v2, off, s[64:67], 0 offset:36 ; 4-byte Folded Reload
	buffer_load_dword v3, off, s[64:67], 0 offset:40 ; 4-byte Folded Reload
	s_waitcnt vmcnt(0)
	ds_write_b128 v134, v[0:3] offset:20128
	;; [unrolled: 6-line block ×4, first 2 shown]
.LBB0_11:
	s_or_b64 exec, exec, s[8:9]
	s_waitcnt vmcnt(0) lgkmcnt(0)
	s_barrier
	s_and_saveexec_b64 s[8:9], s[0:1]
	s_cbranch_execz .LBB0_13
; %bb.12:
	v_add_co_u32_e32 v0, vcc, s12, v132
	v_mov_b32_e32 v1, s13
	v_addc_co_u32_e32 v1, vcc, 0, v1, vcc
	v_add_co_u32_e32 v14, vcc, 0x6f90, v0
	v_addc_co_u32_e32 v15, vcc, 0, v1, vcc
	v_add_co_u32_e32 v6, vcc, 0x6000, v0
	v_addc_co_u32_e32 v7, vcc, 0, v1, vcc
	global_load_dwordx4 v[6:9], v[6:7], off offset:3984
	ds_read_b128 v[2:5], v134
	s_mov_b32 s10, 0x8000
	s_waitcnt vmcnt(0) lgkmcnt(0)
	v_mul_f64 v[10:11], v[4:5], v[8:9]
	v_fma_f64 v[10:11], v[2:3], v[6:7], -v[10:11]
	v_mul_f64 v[2:3], v[2:3], v[8:9]
	v_fma_f64 v[12:13], v[4:5], v[6:7], v[2:3]
	global_load_dwordx4 v[6:9], v[14:15], off offset:1680
	ds_write_b128 v134, v[10:13]
	ds_read_b128 v[2:5], v132 offset:1680
	s_waitcnt vmcnt(0) lgkmcnt(0)
	v_mul_f64 v[10:11], v[4:5], v[8:9]
	v_fma_f64 v[10:11], v[2:3], v[6:7], -v[10:11]
	v_mul_f64 v[2:3], v[2:3], v[8:9]
	v_fma_f64 v[12:13], v[4:5], v[6:7], v[2:3]
	global_load_dwordx4 v[6:9], v[14:15], off offset:3360
	ds_read_b128 v[2:5], v132 offset:3360
	v_add_co_u32_e32 v14, vcc, s10, v0
	v_addc_co_u32_e32 v15, vcc, 0, v1, vcc
	s_mov_b32 s10, 0x9000
	ds_write_b128 v132, v[10:13] offset:1680
	s_waitcnt vmcnt(0) lgkmcnt(1)
	v_mul_f64 v[10:11], v[4:5], v[8:9]
	v_fma_f64 v[10:11], v[2:3], v[6:7], -v[10:11]
	v_mul_f64 v[2:3], v[2:3], v[8:9]
	v_fma_f64 v[12:13], v[4:5], v[6:7], v[2:3]
	global_load_dwordx4 v[6:9], v[14:15], off offset:832
	ds_read_b128 v[2:5], v132 offset:5040
	ds_write_b128 v132, v[10:13] offset:3360
	s_waitcnt vmcnt(0) lgkmcnt(1)
	v_mul_f64 v[10:11], v[4:5], v[8:9]
	v_fma_f64 v[10:11], v[2:3], v[6:7], -v[10:11]
	v_mul_f64 v[2:3], v[2:3], v[8:9]
	v_fma_f64 v[12:13], v[4:5], v[6:7], v[2:3]
	global_load_dwordx4 v[6:9], v[14:15], off offset:2512
	ds_read_b128 v[2:5], v132 offset:6720
	v_add_co_u32_e32 v14, vcc, s10, v0
	v_addc_co_u32_e32 v15, vcc, 0, v1, vcc
	s_mov_b32 s10, 0xa000
	ds_write_b128 v132, v[10:13] offset:5040
	s_waitcnt vmcnt(0) lgkmcnt(1)
	v_mul_f64 v[10:11], v[4:5], v[8:9]
	v_fma_f64 v[10:11], v[2:3], v[6:7], -v[10:11]
	v_mul_f64 v[2:3], v[2:3], v[8:9]
	v_fma_f64 v[12:13], v[4:5], v[6:7], v[2:3]
	global_load_dwordx4 v[6:9], v[14:15], off offset:96
	ds_read_b128 v[2:5], v132 offset:8400
	ds_write_b128 v132, v[10:13] offset:6720
	s_waitcnt vmcnt(0) lgkmcnt(1)
	v_mul_f64 v[10:11], v[4:5], v[8:9]
	v_fma_f64 v[10:11], v[2:3], v[6:7], -v[10:11]
	v_mul_f64 v[2:3], v[2:3], v[8:9]
	v_fma_f64 v[12:13], v[4:5], v[6:7], v[2:3]
	global_load_dwordx4 v[6:9], v[14:15], off offset:1776
	ds_read_b128 v[2:5], v132 offset:10080
	;; [unrolled: 8-line block ×3, first 2 shown]
	v_add_co_u32_e32 v14, vcc, s10, v0
	v_addc_co_u32_e32 v15, vcc, 0, v1, vcc
	s_mov_b32 s10, 0xb000
	ds_write_b128 v132, v[10:13] offset:10080
	s_waitcnt vmcnt(0) lgkmcnt(1)
	v_mul_f64 v[10:11], v[4:5], v[8:9]
	v_fma_f64 v[10:11], v[2:3], v[6:7], -v[10:11]
	v_mul_f64 v[2:3], v[2:3], v[8:9]
	v_fma_f64 v[12:13], v[4:5], v[6:7], v[2:3]
	global_load_dwordx4 v[6:9], v[14:15], off offset:1040
	ds_read_b128 v[2:5], v132 offset:13440
	ds_write_b128 v132, v[10:13] offset:11760
	s_waitcnt vmcnt(0) lgkmcnt(1)
	v_mul_f64 v[10:11], v[4:5], v[8:9]
	v_fma_f64 v[10:11], v[2:3], v[6:7], -v[10:11]
	v_mul_f64 v[2:3], v[2:3], v[8:9]
	v_fma_f64 v[12:13], v[4:5], v[6:7], v[2:3]
	global_load_dwordx4 v[6:9], v[14:15], off offset:2720
	ds_read_b128 v[2:5], v132 offset:15120
	v_add_co_u32_e32 v14, vcc, s10, v0
	v_addc_co_u32_e32 v15, vcc, 0, v1, vcc
	s_mov_b32 s10, 0xc000
	ds_write_b128 v132, v[10:13] offset:13440
	s_waitcnt vmcnt(0) lgkmcnt(1)
	v_mul_f64 v[10:11], v[4:5], v[8:9]
	v_fma_f64 v[10:11], v[2:3], v[6:7], -v[10:11]
	v_mul_f64 v[2:3], v[2:3], v[8:9]
	v_fma_f64 v[12:13], v[4:5], v[6:7], v[2:3]
	global_load_dwordx4 v[6:9], v[14:15], off offset:304
	ds_read_b128 v[2:5], v132 offset:16800
	ds_write_b128 v132, v[10:13] offset:15120
	s_waitcnt vmcnt(0) lgkmcnt(1)
	v_mul_f64 v[10:11], v[4:5], v[8:9]
	v_fma_f64 v[10:11], v[2:3], v[6:7], -v[10:11]
	v_mul_f64 v[2:3], v[2:3], v[8:9]
	v_fma_f64 v[12:13], v[4:5], v[6:7], v[2:3]
	global_load_dwordx4 v[6:9], v[14:15], off offset:1984
	ds_read_b128 v[2:5], v132 offset:18480
	;; [unrolled: 8-line block ×3, first 2 shown]
	v_add_co_u32_e32 v14, vcc, s10, v0
	v_addc_co_u32_e32 v15, vcc, 0, v1, vcc
	s_mov_b32 s10, 0xd000
	ds_write_b128 v132, v[10:13] offset:18480
	s_waitcnt vmcnt(0) lgkmcnt(1)
	v_mul_f64 v[10:11], v[4:5], v[8:9]
	v_fma_f64 v[10:11], v[2:3], v[6:7], -v[10:11]
	v_mul_f64 v[2:3], v[2:3], v[8:9]
	v_fma_f64 v[12:13], v[4:5], v[6:7], v[2:3]
	global_load_dwordx4 v[6:9], v[14:15], off offset:1248
	ds_read_b128 v[2:5], v132 offset:21840
	ds_write_b128 v132, v[10:13] offset:20160
	s_waitcnt vmcnt(0) lgkmcnt(1)
	v_mul_f64 v[10:11], v[4:5], v[8:9]
	v_fma_f64 v[10:11], v[2:3], v[6:7], -v[10:11]
	v_mul_f64 v[2:3], v[2:3], v[8:9]
	v_fma_f64 v[12:13], v[4:5], v[6:7], v[2:3]
	global_load_dwordx4 v[6:9], v[14:15], off offset:2928
	ds_read_b128 v[2:5], v132 offset:23520
	ds_write_b128 v132, v[10:13] offset:21840
	s_waitcnt vmcnt(0) lgkmcnt(1)
	v_mul_f64 v[10:11], v[4:5], v[8:9]
	v_fma_f64 v[10:11], v[2:3], v[6:7], -v[10:11]
	v_mul_f64 v[2:3], v[2:3], v[8:9]
	v_fma_f64 v[12:13], v[4:5], v[6:7], v[2:3]
	ds_read_b128 v[2:5], v132 offset:25200
	ds_write_b128 v132, v[10:13] offset:23520
	v_add_co_u32_e32 v10, vcc, s10, v0
	v_addc_co_u32_e32 v11, vcc, 0, v1, vcc
	global_load_dwordx4 v[6:9], v[10:11], off offset:512
	s_waitcnt vmcnt(0) lgkmcnt(1)
	v_mul_f64 v[0:1], v[4:5], v[8:9]
	v_fma_f64 v[0:1], v[2:3], v[6:7], -v[0:1]
	v_mul_f64 v[2:3], v[2:3], v[8:9]
	v_fma_f64 v[2:3], v[4:5], v[6:7], v[2:3]
	global_load_dwordx4 v[4:7], v[10:11], off offset:2192
	ds_write_b128 v132, v[0:3] offset:25200
	ds_read_b128 v[0:3], v132 offset:26880
	s_waitcnt vmcnt(0) lgkmcnt(0)
	v_mul_f64 v[8:9], v[2:3], v[6:7]
	v_fma_f64 v[8:9], v[0:1], v[4:5], -v[8:9]
	v_mul_f64 v[0:1], v[0:1], v[6:7]
	v_fma_f64 v[10:11], v[2:3], v[4:5], v[0:1]
	ds_write_b128 v132, v[8:11] offset:26880
.LBB0_13:
	s_or_b64 exec, exec, s[8:9]
	s_waitcnt lgkmcnt(0)
	s_barrier
	s_and_saveexec_b64 s[8:9], s[0:1]
	s_cbranch_execz .LBB0_15
; %bb.14:
	ds_read_b128 v[184:187], v134
	ds_read_b128 v[244:247], v134 offset:1680
	ds_read_b128 v[248:251], v134 offset:3360
	;; [unrolled: 1-line block ×16, first 2 shown]
.LBB0_15:
	s_or_b64 exec, exec, s[8:9]
	s_waitcnt lgkmcnt(0)
	v_add_f64 v[174:175], v[246:247], v[242:243]
	s_mov_b32 s10, 0x75d4884
	s_mov_b32 s11, 0x3fe7a5f6
	v_add_f64 v[170:171], v[244:245], -v[240:241]
	v_add_f64 v[114:115], v[246:247], -v[242:243]
	s_mov_b32 s20, 0x5d8e7cdc
	s_mov_b32 s18, 0x2a9d6da3
	s_mov_b32 s21, 0xbfd71e95
	v_mul_f64 v[62:63], v[174:175], s[10:11]
	s_mov_b32 s19, 0xbfe58eea
	v_add_f64 v[168:169], v[244:245], v[240:241]
	v_add_f64 v[96:97], v[250:251], -v[238:239]
	v_mul_f64 v[46:47], v[114:115], s[20:21]
	s_mov_b32 s8, 0x370991
	s_mov_b32 s9, 0x3fedd6d0
	v_mul_f64 v[48:49], v[174:175], s[8:9]
	v_fma_f64 v[6:7], v[170:171], s[18:19], v[62:63]
	v_add_f64 v[172:173], v[248:249], v[236:237]
	v_mul_f64 v[50:51], v[114:115], s[18:19]
	v_mul_f64 v[52:53], v[96:97], s[18:19]
	v_fma_f64 v[0:1], v[168:169], s[8:9], -v[46:47]
	v_add_f64 v[162:163], v[248:249], -v[236:237]
	v_add_f64 v[24:25], v[226:227], v[218:219]
	v_fma_f64 v[2:3], v[170:171], s[20:21], v[48:49]
	v_add_f64 v[8:9], v[186:187], v[6:7]
	v_add_f64 v[6:7], v[250:251], v[238:239]
	s_mov_b32 s24, 0xeb564b22
	v_fma_f64 v[10:11], v[172:173], s[10:11], -v[52:53]
	v_add_f64 v[0:1], v[184:185], v[0:1]
	s_mov_b32 s25, 0xbfefdd0d
	s_mov_b32 s34, 0x7faef3
	v_add_f64 v[2:3], v[186:187], v[2:3]
	v_fma_f64 v[4:5], v[168:169], s[10:11], -v[50:51]
	v_mul_f64 v[54:55], v[6:7], s[10:11]
	v_mul_f64 v[56:57], v[96:97], s[24:25]
	s_mov_b32 s35, 0xbfef7484
	v_add_f64 v[0:1], v[10:11], v[0:1]
	v_mul_f64 v[26:27], v[24:25], s[34:35]
	s_mov_b32 s16, 0x3259b75e
	s_mov_b32 s17, 0x3fb79ee6
	v_add_f64 v[4:5], v[184:185], v[4:5]
	v_fma_f64 v[10:11], v[162:163], s[18:19], v[54:55]
	v_mul_f64 v[72:73], v[6:7], s[16:17]
	v_add_f64 v[70:71], v[230:231], -v[234:235]
	buffer_store_dword v26, off, s[64:67], 0 offset:492 ; 4-byte Folded Spill
	s_nop 0
	buffer_store_dword v27, off, s[64:67], 0 offset:496 ; 4-byte Folded Spill
	s_mov_b32 s30, 0x7c9e640b
	s_mov_b32 s31, 0xbfeca52d
	v_add_f64 v[160:161], v[228:229], v[232:233]
	v_add_f64 v[2:3], v[10:11], v[2:3]
	v_fma_f64 v[10:11], v[172:173], s[16:17], -v[56:57]
	v_mul_f64 v[58:59], v[70:71], s[30:31]
	s_mov_b32 s22, 0x2b2883cd
	s_mov_b32 s23, 0x3fdc86fa
	;; [unrolled: 1-line block ×4, first 2 shown]
	v_mul_f64 v[64:65], v[70:71], s[26:27]
	s_mov_b32 s28, 0x6ed5f1bb
	v_add_f64 v[12:13], v[10:11], v[4:5]
	v_fma_f64 v[4:5], v[162:163], s[24:25], v[72:73]
	v_add_f64 v[10:11], v[230:231], v[234:235]
	v_fma_f64 v[14:15], v[160:161], s[22:23], -v[58:59]
	s_mov_b32 s29, 0xbfe348c8
	v_add_f64 v[166:167], v[226:227], -v[218:219]
	v_mul_f64 v[74:75], v[24:25], s[16:17]
	s_mov_b32 s51, 0xbfc7851a
	s_mov_b32 s50, 0xacd6c6b4
	v_add_f64 v[8:9], v[4:5], v[8:9]
	v_add_f64 v[4:5], v[228:229], -v[232:233]
	v_mul_f64 v[60:61], v[10:11], s[22:23]
	v_add_f64 v[0:1], v[14:15], v[0:1]
	v_mul_f64 v[78:79], v[10:11], s[28:29]
	v_mul_f64 v[66:67], v[166:167], s[24:25]
	v_mul_f64 v[76:77], v[166:167], s[50:51]
	v_add_f64 v[30:31], v[222:223], -v[214:215]
	s_mov_b32 s42, 0x923c349f
	s_mov_b32 s43, 0xbfeec746
	v_fma_f64 v[14:15], v[4:5], s[30:31], v[60:61]
	v_add_f64 v[252:253], v[222:223], v[214:215]
	v_add_f64 v[68:69], v[220:221], -v[212:213]
	s_mov_b32 s44, 0x4363dd80
	s_mov_b32 s45, 0x3fe0d888
	v_mul_f64 v[80:81], v[30:31], s[42:43]
	s_mov_b32 s36, 0x910ea3b9
	s_mov_b32 s37, 0xbfeb34fa
	v_add_f64 v[2:3], v[14:15], v[2:3]
	v_fma_f64 v[14:15], v[160:161], s[28:29], -v[64:65]
	v_mul_f64 v[82:83], v[252:253], s[38:39]
	v_add_f64 v[36:37], v[190:191], -v[210:211]
	v_add_f64 v[254:255], v[188:189], -v[208:209]
	s_mov_b32 s47, 0x3feec746
	s_mov_b32 s46, s42
	v_add_f64 v[38:39], v[194:195], -v[206:207]
	s_mov_b32 s49, 0xbfe0d888
	v_add_f64 v[12:13], v[14:15], v[12:13]
	v_fma_f64 v[14:15], v[4:5], s[26:27], v[78:79]
	v_mul_f64 v[32:33], v[36:37], s[26:27]
	s_mov_b32 s48, s44
	v_add_f64 v[164:165], v[192:193], v[204:205]
	s_mov_b32 s52, s30
	v_mul_f64 v[44:45], v[38:39], s[48:49]
	s_mov_b32 s55, 0x3fd71e95
	s_mov_b32 s54, s20
	v_add_f64 v[16:17], v[14:15], v[8:9]
	v_add_f64 v[8:9], v[224:225], v[216:217]
	v_add_f64 v[14:15], v[224:225], -v[216:217]
	v_fma_f64 v[18:19], v[8:9], s[16:17], -v[66:67]
	v_add_f64 v[0:1], v[18:19], v[0:1]
	v_fma_f64 v[18:19], v[14:15], s[24:25], v[74:75]
	v_add_f64 v[2:3], v[18:19], v[2:3]
	v_fma_f64 v[18:19], v[8:9], s[34:35], -v[76:77]
	v_add_f64 v[18:19], v[18:19], v[12:13]
	v_fma_f64 v[12:13], v[14:15], s[50:51], v[26:27]
	v_add_f64 v[16:17], v[12:13], v[16:17]
	v_add_f64 v[12:13], v[220:221], v[212:213]
	v_fma_f64 v[26:27], v[12:13], s[38:39], -v[80:81]
	v_add_f64 v[0:1], v[26:27], v[0:1]
	v_fma_f64 v[26:27], v[68:69], s[42:43], v[82:83]
	v_add_f64 v[28:29], v[26:27], v[2:3]
	v_mul_f64 v[2:3], v[30:31], s[44:45]
	v_mul_f64 v[26:27], v[252:253], s[36:37]
	buffer_store_dword v2, off, s[64:67], 0 offset:484 ; 4-byte Folded Spill
	s_nop 0
	buffer_store_dword v3, off, s[64:67], 0 offset:488 ; 4-byte Folded Spill
	buffer_store_dword v26, off, s[64:67], 0 offset:524 ; 4-byte Folded Spill
	s_nop 0
	buffer_store_dword v27, off, s[64:67], 0 offset:528 ; 4-byte Folded Spill
	buffer_store_dword v32, off, s[64:67], 0 offset:500 ; 4-byte Folded Spill
	s_nop 0
	buffer_store_dword v33, off, s[64:67], 0 offset:504 ; 4-byte Folded Spill
	v_fma_f64 v[2:3], v[12:13], s[36:37], -v[2:3]
	v_add_f64 v[18:19], v[2:3], v[18:19]
	v_fma_f64 v[2:3], v[68:69], s[44:45], v[26:27]
	v_add_f64 v[26:27], v[188:189], v[208:209]
	v_add_f64 v[16:17], v[2:3], v[16:17]
	;; [unrolled: 1-line block ×3, first 2 shown]
	v_fma_f64 v[32:33], v[26:27], s[28:29], -v[32:33]
	v_mul_f64 v[34:35], v[2:3], s[28:29]
	buffer_store_dword v34, off, s[64:67], 0 offset:508 ; 4-byte Folded Spill
	s_nop 0
	buffer_store_dword v35, off, s[64:67], 0 offset:512 ; 4-byte Folded Spill
	v_add_f64 v[32:33], v[32:33], v[0:1]
	v_fma_f64 v[0:1], v[254:255], s[26:27], v[34:35]
	v_mul_f64 v[34:35], v[2:3], s[38:39]
	v_add_f64 v[28:29], v[0:1], v[28:29]
	v_mul_f64 v[0:1], v[36:37], s[46:47]
	buffer_store_dword v0, off, s[64:67], 0 offset:516 ; 4-byte Folded Spill
	s_nop 0
	buffer_store_dword v1, off, s[64:67], 0 offset:520 ; 4-byte Folded Spill
	buffer_store_dword v34, off, s[64:67], 0 offset:556 ; 4-byte Folded Spill
	s_nop 0
	buffer_store_dword v35, off, s[64:67], 0 offset:560 ; 4-byte Folded Spill
	;; [unrolled: 3-line block ×3, first 2 shown]
	v_fma_f64 v[0:1], v[26:27], s[38:39], -v[0:1]
	v_fma_f64 v[176:177], v[164:165], s[36:37], -v[44:45]
	v_add_f64 v[18:19], v[0:1], v[18:19]
	v_fma_f64 v[0:1], v[254:255], s[46:47], v[34:35]
	v_add_f64 v[176:177], v[176:177], v[32:33]
	v_add_f64 v[34:35], v[0:1], v[16:17]
	;; [unrolled: 1-line block ×3, first 2 shown]
	v_add_f64 v[16:17], v[192:193], -v[204:205]
	v_mul_f64 v[178:179], v[0:1], s[36:37]
	buffer_store_dword v178, off, s[64:67], 0 offset:540 ; 4-byte Folded Spill
	s_nop 0
	buffer_store_dword v179, off, s[64:67], 0 offset:544 ; 4-byte Folded Spill
	v_mul_f64 v[98:99], v[0:1], s[22:23]
	v_fma_f64 v[32:33], v[16:17], s[48:49], v[178:179]
	v_add_f64 v[178:179], v[32:33], v[28:29]
	v_mul_f64 v[28:29], v[38:39], s[52:53]
	buffer_store_dword v28, off, s[64:67], 0 offset:548 ; 4-byte Folded Spill
	s_nop 0
	buffer_store_dword v29, off, s[64:67], 0 offset:552 ; 4-byte Folded Spill
	v_add_f64 v[32:33], v[196:197], -v[200:201]
	v_fma_f64 v[28:29], v[164:165], s[22:23], -v[28:29]
	v_add_f64 v[180:181], v[28:29], v[18:19]
	v_fma_f64 v[18:19], v[16:17], s[52:53], v[98:99]
	v_add_f64 v[28:29], v[198:199], v[202:203]
	v_add_f64 v[182:183], v[18:19], v[34:35]
	v_add_f64 v[34:35], v[198:199], -v[202:203]
	v_mul_f64 v[88:89], v[28:29], s[34:35]
	v_add_f64 v[18:19], v[196:197], v[200:201]
	v_mul_f64 v[44:45], v[34:35], s[50:51]
	buffer_store_dword v44, off, s[64:67], 0 offset:564 ; 4-byte Folded Spill
	s_nop 0
	buffer_store_dword v45, off, s[64:67], 0 offset:568 ; 4-byte Folded Spill
	buffer_store_dword v88, off, s[64:67], 0 offset:572 ; 4-byte Folded Spill
	s_nop 0
	buffer_store_dword v89, off, s[64:67], 0 offset:576 ; 4-byte Folded Spill
	v_fma_f64 v[44:45], v[18:19], s[34:35], -v[44:45]
	v_add_f64 v[176:177], v[44:45], v[176:177]
	v_fma_f64 v[44:45], v[32:33], s[50:51], v[88:89]
	v_mul_f64 v[88:89], v[28:29], s[8:9]
	v_add_f64 v[178:179], v[44:45], v[178:179]
	v_mul_f64 v[44:45], v[34:35], s[54:55]
	buffer_store_dword v44, off, s[64:67], 0 offset:588 ; 4-byte Folded Spill
	s_nop 0
	buffer_store_dword v45, off, s[64:67], 0 offset:592 ; 4-byte Folded Spill
	buffer_store_dword v88, off, s[64:67], 0 offset:580 ; 4-byte Folded Spill
	s_nop 0
	buffer_store_dword v89, off, s[64:67], 0 offset:584 ; 4-byte Folded Spill
	s_waitcnt vmcnt(0)
	s_barrier
	v_fma_f64 v[44:45], v[18:19], s[8:9], -v[44:45]
	v_add_f64 v[180:181], v[44:45], v[180:181]
	v_fma_f64 v[44:45], v[32:33], s[54:55], v[88:89]
	v_add_f64 v[182:183], v[44:45], v[182:183]
	s_and_saveexec_b64 s[40:41], s[0:1]
	s_cbranch_execz .LBB0_17
; %bb.16:
	buffer_store_dword v46, off, s[64:67], 0 offset:628 ; 4-byte Folded Spill
	s_nop 0
	buffer_store_dword v47, off, s[64:67], 0 offset:632 ; 4-byte Folded Spill
	v_mul_f64 v[44:45], v[170:171], s[50:51]
	v_mul_f64 v[46:47], v[114:115], s[50:51]
	buffer_store_dword v48, off, s[64:67], 0 offset:668 ; 4-byte Folded Spill
	s_nop 0
	buffer_store_dword v49, off, s[64:67], 0 offset:672 ; 4-byte Folded Spill
	buffer_store_dword v50, off, s[64:67], 0 offset:636 ; 4-byte Folded Spill
	s_nop 0
	buffer_store_dword v51, off, s[64:67], 0 offset:640 ; 4-byte Folded Spill
	;; [unrolled: 3-line block ×5, first 2 shown]
	v_mov_b32_e32 v89, v59
	buffer_store_dword v60, off, s[64:67], 0 offset:612 ; 4-byte Folded Spill
	s_nop 0
	buffer_store_dword v61, off, s[64:67], 0 offset:616 ; 4-byte Folded Spill
	v_mul_f64 v[52:53], v[162:163], s[54:55]
	v_fma_f64 v[56:57], v[174:175], s[34:35], v[44:45]
	v_mov_b32_e32 v88, v58
	v_mul_f64 v[58:59], v[96:97], s[54:55]
	v_fma_f64 v[60:61], v[168:169], s[34:35], -v[46:47]
	buffer_store_dword v62, off, s[64:67], 0 offset:740 ; 4-byte Folded Spill
	s_nop 0
	buffer_store_dword v63, off, s[64:67], 0 offset:744 ; 4-byte Folded Spill
	buffer_store_dword v64, off, s[64:67], 0 offset:652 ; 4-byte Folded Spill
	s_nop 0
	buffer_store_dword v65, off, s[64:67], 0 offset:656 ; 4-byte Folded Spill
	;; [unrolled: 3-line block ×4, first 2 shown]
	v_mul_f64 v[62:63], v[4:5], s[48:49]
	v_fma_f64 v[64:65], v[6:7], s[8:9], v[52:53]
	v_fma_f64 v[44:45], v[174:175], s[34:35], -v[44:45]
	v_add_f64 v[56:57], v[186:187], v[56:57]
	v_mul_f64 v[66:67], v[70:71], s[48:49]
	v_fma_f64 v[72:73], v[172:173], s[8:9], -v[58:59]
	v_add_f64 v[60:61], v[184:185], v[60:61]
	s_mov_b32 s57, 0x3fe58eea
	s_mov_b32 s56, s18
	buffer_store_dword v74, off, s[64:67], 0 offset:700 ; 4-byte Folded Spill
	s_nop 0
	buffer_store_dword v75, off, s[64:67], 0 offset:704 ; 4-byte Folded Spill
	buffer_store_dword v76, off, s[64:67], 0 offset:716 ; 4-byte Folded Spill
	s_nop 0
	buffer_store_dword v77, off, s[64:67], 0 offset:720 ; 4-byte Folded Spill
	;; [unrolled: 3-line block ×3, first 2 shown]
	v_mul_f64 v[74:75], v[14:15], s[56:57]
	v_fma_f64 v[76:77], v[10:11], s[36:37], v[62:63]
	v_fma_f64 v[52:53], v[6:7], s[8:9], -v[52:53]
	v_add_f64 v[44:45], v[186:187], v[44:45]
	v_add_f64 v[56:57], v[64:65], v[56:57]
	v_mul_f64 v[64:65], v[166:167], s[56:57]
	v_fma_f64 v[78:79], v[160:161], s[36:37], -v[66:67]
	v_add_f64 v[60:61], v[72:73], v[60:61]
	buffer_store_dword v80, off, s[64:67], 0 offset:708 ; 4-byte Folded Spill
	s_nop 0
	buffer_store_dword v81, off, s[64:67], 0 offset:712 ; 4-byte Folded Spill
	v_mul_f64 v[54:55], v[68:69], s[26:27]
	v_fma_f64 v[62:63], v[10:11], s[36:37], -v[62:63]
	v_fma_f64 v[80:81], v[24:25], s[10:11], v[74:75]
	v_add_f64 v[44:45], v[52:53], v[44:45]
	v_add_f64 v[52:53], v[76:77], v[56:57]
	v_mul_f64 v[56:57], v[30:31], s[26:27]
	v_fma_f64 v[76:77], v[8:9], s[10:11], -v[64:65]
	v_add_f64 v[60:61], v[78:79], v[60:61]
	buffer_store_dword v82, off, s[64:67], 0 offset:724 ; 4-byte Folded Spill
	s_nop 0
	buffer_store_dword v83, off, s[64:67], 0 offset:728 ; 4-byte Folded Spill
	v_mul_f64 v[50:51], v[254:255], s[52:53]
	v_mul_f64 v[78:79], v[36:37], s[52:53]
	v_fma_f64 v[82:83], v[252:253], s[28:29], v[54:55]
	v_fma_f64 v[74:75], v[24:25], s[10:11], -v[74:75]
	v_add_f64 v[44:45], v[62:63], v[44:45]
	v_add_f64 v[52:53], v[80:81], v[52:53]
	v_fma_f64 v[80:81], v[12:13], s[28:29], -v[56:57]
	v_add_f64 v[60:61], v[76:77], v[60:61]
	v_mul_f64 v[48:49], v[16:17], s[42:43]
	v_mul_f64 v[72:73], v[38:39], s[42:43]
	v_fma_f64 v[76:77], v[2:3], s[22:23], v[50:51]
	v_fma_f64 v[54:55], v[252:253], s[28:29], -v[54:55]
	v_fma_f64 v[46:47], v[168:169], s[34:35], v[46:47]
	v_add_f64 v[44:45], v[74:75], v[44:45]
	v_add_f64 v[52:53], v[82:83], v[52:53]
	v_fma_f64 v[82:83], v[26:27], s[22:23], -v[78:79]
	v_add_f64 v[60:61], v[80:81], v[60:61]
	s_mov_b32 s61, 0x3fefdd0d
	s_mov_b32 s60, s24
	v_mul_f64 v[62:63], v[32:33], s[60:61]
	v_fma_f64 v[74:75], v[0:1], s[38:39], v[48:49]
	v_fma_f64 v[50:51], v[2:3], s[22:23], -v[50:51]
	v_fma_f64 v[58:59], v[172:173], s[8:9], v[58:59]
	v_add_f64 v[46:47], v[184:185], v[46:47]
	v_add_f64 v[44:45], v[54:55], v[44:45]
	;; [unrolled: 1-line block ×3, first 2 shown]
	v_mul_f64 v[54:55], v[34:35], s[60:61]
	v_fma_f64 v[76:77], v[164:165], s[38:39], -v[72:73]
	v_add_f64 v[60:61], v[82:83], v[60:61]
	v_fma_f64 v[80:81], v[28:29], s[16:17], v[62:63]
	v_fma_f64 v[48:49], v[0:1], s[38:39], -v[48:49]
	v_add_f64 v[46:47], v[58:59], v[46:47]
	v_add_f64 v[44:45], v[50:51], v[44:45]
	;; [unrolled: 1-line block ×3, first 2 shown]
	v_fma_f64 v[52:53], v[18:19], s[16:17], -v[54:55]
	v_fma_f64 v[66:67], v[160:161], s[36:37], v[66:67]
	v_add_f64 v[58:59], v[76:77], v[60:61]
	v_fma_f64 v[60:61], v[28:29], s[16:17], -v[62:63]
	v_fma_f64 v[62:63], v[8:9], s[10:11], v[64:65]
	v_mul_f64 v[64:65], v[170:171], s[48:49]
	v_add_f64 v[44:45], v[48:49], v[44:45]
	v_add_f64 v[50:51], v[80:81], v[50:51]
	v_mov_b32_e32 v20, v180
	v_add_f64 v[46:47], v[66:67], v[46:47]
	v_add_f64 v[48:49], v[52:53], v[58:59]
	v_mov_b32_e32 v21, v181
	v_mov_b32_e32 v22, v182
	;; [unrolled: 1-line block ×4, first 2 shown]
	buffer_store_dword v48, off, s[64:67], 0 offset:676 ; 4-byte Folded Spill
	s_nop 0
	buffer_store_dword v49, off, s[64:67], 0 offset:680 ; 4-byte Folded Spill
	buffer_store_dword v50, off, s[64:67], 0 offset:684 ; 4-byte Folded Spill
	;; [unrolled: 1-line block ×3, first 2 shown]
	v_mov_b32_e32 v182, v178
	v_mov_b32_e32 v181, v177
	;; [unrolled: 1-line block ×4, first 2 shown]
	v_fma_f64 v[48:49], v[12:13], s[28:29], v[56:57]
	v_mul_f64 v[50:51], v[162:163], s[52:53]
	v_fma_f64 v[52:53], v[174:175], s[36:37], v[64:65]
	v_add_f64 v[46:47], v[62:63], v[46:47]
	v_mov_b32_e32 v178, v94
	v_mov_b32_e32 v177, v93
	;; [unrolled: 1-line block ×3, first 2 shown]
	v_add_f64 v[92:93], v[60:61], v[44:45]
	v_mul_f64 v[44:45], v[114:115], s[48:49]
	v_fma_f64 v[58:59], v[26:27], s[22:23], v[78:79]
	v_mul_f64 v[60:61], v[4:5], s[24:25]
	v_fma_f64 v[62:63], v[6:7], s[22:23], v[50:51]
	v_add_f64 v[52:53], v[186:187], v[52:53]
	v_add_f64 v[46:47], v[48:49], v[46:47]
	v_mul_f64 v[48:49], v[96:97], s[52:53]
	s_mov_b32 s59, 0x3fe9895b
	v_fma_f64 v[66:67], v[168:169], s[36:37], -v[44:45]
	s_mov_b32 s58, s26
	v_fma_f64 v[56:57], v[164:165], s[38:39], v[72:73]
	v_mul_f64 v[72:73], v[14:15], s[58:59]
	v_fma_f64 v[74:75], v[10:11], s[16:17], v[60:61]
	v_add_f64 v[52:53], v[62:63], v[52:53]
	v_mul_f64 v[62:63], v[70:71], s[24:25]
	v_fma_f64 v[76:77], v[172:173], s[22:23], -v[48:49]
	v_add_f64 v[66:67], v[184:185], v[66:67]
	v_add_f64 v[46:47], v[58:59], v[46:47]
	v_mul_f64 v[58:59], v[68:69], s[20:21]
	v_fma_f64 v[78:79], v[24:25], s[28:29], v[72:73]
	v_fma_f64 v[44:45], v[168:169], s[36:37], v[44:45]
	v_add_f64 v[52:53], v[74:75], v[52:53]
	v_mul_f64 v[74:75], v[166:167], s[58:59]
	v_fma_f64 v[80:81], v[160:161], s[16:17], -v[62:63]
	v_add_f64 v[66:67], v[76:77], v[66:67]
	v_add_f64 v[46:47], v[56:57], v[46:47]
	v_fma_f64 v[56:57], v[174:175], s[36:37], -v[64:65]
	v_mul_f64 v[64:65], v[254:255], s[50:51]
	v_fma_f64 v[76:77], v[252:253], s[8:9], v[58:59]
	v_add_f64 v[52:53], v[78:79], v[52:53]
	v_mul_f64 v[78:79], v[30:31], s[20:21]
	v_fma_f64 v[82:83], v[8:9], s[28:29], -v[74:75]
	v_add_f64 v[66:67], v[80:81], v[66:67]
	v_fma_f64 v[50:51], v[6:7], s[22:23], -v[50:51]
	v_add_f64 v[56:57], v[186:187], v[56:57]
	v_fma_f64 v[48:49], v[172:173], s[22:23], v[48:49]
	v_add_f64 v[44:45], v[184:185], v[44:45]
	buffer_store_dword v84, off, s[64:67], 0 offset:596 ; 4-byte Folded Spill
	s_nop 0
	buffer_store_dword v85, off, s[64:67], 0 offset:600 ; 4-byte Folded Spill
	buffer_store_dword v86, off, s[64:67], 0 offset:604 ; 4-byte Folded Spill
	;; [unrolled: 1-line block ×3, first 2 shown]
	v_fma_f64 v[84:85], v[2:3], s[34:35], v[64:65]
	v_add_f64 v[52:53], v[76:77], v[52:53]
	v_mul_f64 v[76:77], v[36:37], s[50:51]
	v_add_f64 v[66:67], v[82:83], v[66:67]
	v_fma_f64 v[82:83], v[12:13], s[8:9], -v[78:79]
	v_add_f64 v[50:51], v[50:51], v[56:57]
	v_mul_f64 v[56:57], v[16:17], s[56:57]
	v_fma_f64 v[60:61], v[10:11], s[16:17], -v[60:61]
	v_fma_f64 v[62:63], v[160:161], s[16:17], v[62:63]
	v_add_f64 v[44:45], v[48:49], v[44:45]
	v_fma_f64 v[54:55], v[18:19], s[16:17], v[54:55]
	v_mul_f64 v[80:81], v[32:33], s[42:43]
	v_add_f64 v[52:53], v[84:85], v[52:53]
	v_fma_f64 v[84:85], v[26:27], s[34:35], -v[76:77]
	v_add_f64 v[66:67], v[82:83], v[66:67]
	v_mul_f64 v[82:83], v[38:39], s[56:57]
	v_fma_f64 v[48:49], v[0:1], s[10:11], v[56:57]
	v_add_f64 v[50:51], v[60:61], v[50:51]
	v_fma_f64 v[72:73], v[24:25], s[28:29], -v[72:73]
	v_fma_f64 v[74:75], v[8:9], s[28:29], v[74:75]
	v_add_f64 v[44:45], v[62:63], v[44:45]
	v_add_f64 v[90:91], v[54:55], v[46:47]
	v_mul_f64 v[60:61], v[34:35], s[42:43]
	v_add_f64 v[66:67], v[84:85], v[66:67]
	v_fma_f64 v[84:85], v[164:165], s[10:11], -v[82:83]
	v_fma_f64 v[62:63], v[28:29], s[38:39], v[80:81]
	v_add_f64 v[48:49], v[48:49], v[52:53]
	v_fma_f64 v[52:53], v[252:253], s[8:9], -v[58:59]
	v_add_f64 v[50:51], v[72:73], v[50:51]
	v_fma_f64 v[72:73], v[12:13], s[8:9], v[78:79]
	v_add_f64 v[44:45], v[74:75], v[44:45]
	buffer_store_dword v90, off, s[64:67], 0 offset:756 ; 4-byte Folded Spill
	s_nop 0
	buffer_store_dword v91, off, s[64:67], 0 offset:760 ; 4-byte Folded Spill
	buffer_store_dword v92, off, s[64:67], 0 offset:764 ; 4-byte Folded Spill
	;; [unrolled: 1-line block ×3, first 2 shown]
	v_mov_b32_e32 v92, v176
	v_mov_b32_e32 v93, v177
	;; [unrolled: 1-line block ×9, first 2 shown]
	v_fma_f64 v[58:59], v[18:19], s[38:39], -v[60:61]
	v_add_f64 v[66:67], v[84:85], v[66:67]
	v_mov_b32_e32 v182, v22
	v_mov_b32_e32 v181, v21
	;; [unrolled: 1-line block ×3, first 2 shown]
	v_fma_f64 v[46:47], v[2:3], s[34:35], -v[64:65]
	v_mul_f64 v[54:55], v[170:171], s[26:27]
	v_add_f64 v[50:51], v[52:53], v[50:51]
	v_add_f64 v[22:23], v[62:63], v[48:49]
	v_fma_f64 v[48:49], v[26:27], s[34:35], v[76:77]
	v_add_f64 v[44:45], v[72:73], v[44:45]
	v_add_f64 v[20:21], v[58:59], v[66:67]
	v_fma_f64 v[52:53], v[0:1], s[10:11], -v[56:57]
	v_mul_f64 v[56:57], v[162:163], s[46:47]
	v_fma_f64 v[58:59], v[174:175], s[28:29], v[54:55]
	v_add_f64 v[46:47], v[46:47], v[50:51]
	v_mul_f64 v[62:63], v[114:115], s[26:27]
	v_fma_f64 v[64:65], v[164:165], s[10:11], v[82:83]
	v_add_f64 v[44:45], v[48:49], v[44:45]
	v_mul_f64 v[48:49], v[4:5], s[20:21]
	v_fma_f64 v[60:61], v[18:19], s[38:39], v[60:61]
	v_fma_f64 v[66:67], v[6:7], s[38:39], v[56:57]
	v_add_f64 v[58:59], v[186:187], v[58:59]
	v_add_f64 v[46:47], v[52:53], v[46:47]
	v_mul_f64 v[52:53], v[96:97], s[46:47]
	v_fma_f64 v[72:73], v[168:169], s[28:29], -v[62:63]
	v_add_f64 v[44:45], v[64:65], v[44:45]
	buffer_store_dword v20, off, s[64:67], 0 offset:772 ; 4-byte Folded Spill
	s_nop 0
	buffer_store_dword v21, off, s[64:67], 0 offset:776 ; 4-byte Folded Spill
	buffer_store_dword v22, off, s[64:67], 0 offset:780 ; 4-byte Folded Spill
	;; [unrolled: 1-line block ×3, first 2 shown]
	v_fma_f64 v[50:51], v[28:29], s[38:39], -v[80:81]
	v_mul_f64 v[64:65], v[14:15], s[48:49]
	v_fma_f64 v[74:75], v[10:11], s[8:9], v[48:49]
	v_add_f64 v[58:59], v[66:67], v[58:59]
	v_mul_f64 v[66:67], v[70:71], s[20:21]
	v_fma_f64 v[76:77], v[172:173], s[38:39], -v[52:53]
	v_add_f64 v[72:73], v[184:185], v[72:73]
	v_add_f64 v[20:21], v[60:61], v[44:45]
	v_fma_f64 v[44:45], v[174:175], s[28:29], -v[54:55]
	v_add_f64 v[22:23], v[50:51], v[46:47]
	v_mul_f64 v[46:47], v[68:69], s[60:61]
	v_fma_f64 v[50:51], v[24:25], s[36:37], v[64:65]
	v_add_f64 v[54:55], v[74:75], v[58:59]
	v_fma_f64 v[58:59], v[160:161], s[8:9], -v[66:67]
	v_add_f64 v[60:61], v[76:77], v[72:73]
	v_mul_f64 v[72:73], v[166:167], s[48:49]
	v_fma_f64 v[56:57], v[6:7], s[38:39], -v[56:57]
	v_add_f64 v[44:45], v[186:187], v[44:45]
	v_mul_f64 v[74:75], v[254:255], s[18:19]
	v_fma_f64 v[76:77], v[252:253], s[16:17], v[46:47]
	v_add_f64 v[50:51], v[50:51], v[54:55]
	v_mul_f64 v[54:55], v[30:31], s[60:61]
	v_add_f64 v[58:59], v[58:59], v[60:61]
	v_fma_f64 v[60:61], v[8:9], s[36:37], -v[72:73]
	v_fma_f64 v[48:49], v[10:11], s[8:9], -v[48:49]
	v_add_f64 v[44:45], v[56:57], v[44:45]
	v_mul_f64 v[56:57], v[16:17], s[50:51]
	v_fma_f64 v[64:65], v[24:25], s[36:37], -v[64:65]
	v_add_f64 v[50:51], v[76:77], v[50:51]
	v_fma_f64 v[76:77], v[2:3], s[10:11], v[74:75]
	v_fma_f64 v[46:47], v[252:253], s[16:17], -v[46:47]
	v_add_f64 v[58:59], v[60:61], v[58:59]
	v_fma_f64 v[60:61], v[12:13], s[16:17], -v[54:55]
	v_add_f64 v[44:45], v[48:49], v[44:45]
	v_mul_f64 v[48:49], v[36:37], s[18:19]
	v_fma_f64 v[62:63], v[168:169], s[28:29], v[62:63]
	v_fma_f64 v[74:75], v[2:3], s[10:11], -v[74:75]
	v_add_f64 v[50:51], v[76:77], v[50:51]
	v_fma_f64 v[76:77], v[0:1], s[34:35], v[56:57]
	v_fma_f64 v[52:53], v[172:173], s[38:39], v[52:53]
	v_add_f64 v[58:59], v[60:61], v[58:59]
	v_add_f64 v[44:45], v[64:65], v[44:45]
	v_fma_f64 v[60:61], v[26:27], s[10:11], -v[48:49]
	v_mul_f64 v[64:65], v[38:39], s[50:51]
	v_add_f64 v[62:63], v[184:185], v[62:63]
	buffer_store_dword v20, off, s[64:67], 0 offset:788 ; 4-byte Folded Spill
	s_nop 0
	buffer_store_dword v21, off, s[64:67], 0 offset:792 ; 4-byte Folded Spill
	buffer_store_dword v22, off, s[64:67], 0 offset:796 ; 4-byte Folded Spill
	;; [unrolled: 1-line block ×3, first 2 shown]
	v_add_f64 v[50:51], v[76:77], v[50:51]
	v_mul_f64 v[76:77], v[32:33], s[52:53]
	v_fma_f64 v[56:57], v[0:1], s[34:35], -v[56:57]
	v_add_f64 v[44:45], v[46:47], v[44:45]
	v_add_f64 v[58:59], v[60:61], v[58:59]
	v_fma_f64 v[60:61], v[164:165], s[34:35], -v[64:65]
	v_mul_f64 v[46:47], v[34:35], s[52:53]
	v_add_f64 v[52:53], v[52:53], v[62:63]
	v_mul_f64 v[62:63], v[170:171], s[42:43]
	v_fma_f64 v[54:55], v[12:13], s[16:17], v[54:55]
	v_fma_f64 v[48:49], v[26:27], s[10:11], v[48:49]
	v_add_f64 v[44:45], v[74:75], v[44:45]
	v_fma_f64 v[64:65], v[164:165], s[34:35], v[64:65]
	v_add_f64 v[58:59], v[60:61], v[58:59]
	v_fma_f64 v[60:61], v[28:29], s[22:23], v[76:77]
	v_fma_f64 v[74:75], v[18:19], s[22:23], -v[46:47]
	v_fma_f64 v[46:47], v[18:19], s[22:23], v[46:47]
	v_mul_f64 v[86:87], v[68:69], s[42:43]
	v_mul_f64 v[82:83], v[160:161], s[22:23]
	v_add_f64 v[44:45], v[56:57], v[44:45]
	v_fma_f64 v[56:57], v[8:9], s[36:37], v[72:73]
	v_fma_f64 v[72:73], v[28:29], s[22:23], -v[76:77]
	v_add_f64 v[22:23], v[60:61], v[50:51]
	v_fma_f64 v[50:51], v[160:161], s[8:9], v[66:67]
	v_add_f64 v[20:21], v[74:75], v[58:59]
	v_mul_f64 v[58:59], v[162:163], s[44:45]
	v_fma_f64 v[60:61], v[174:175], s[38:39], v[62:63]
	buffer_store_dword v20, off, s[64:67], 0 offset:804 ; 4-byte Folded Spill
	s_nop 0
	buffer_store_dword v21, off, s[64:67], 0 offset:808 ; 4-byte Folded Spill
	buffer_store_dword v22, off, s[64:67], 0 offset:812 ; 4-byte Folded Spill
	;; [unrolled: 1-line block ×3, first 2 shown]
	v_add_f64 v[50:51], v[50:51], v[52:53]
	v_mul_f64 v[52:53], v[4:5], s[56:57]
	v_fma_f64 v[66:67], v[6:7], s[36:37], v[58:59]
	v_add_f64 v[60:61], v[186:187], v[60:61]
	v_add_f64 v[22:23], v[72:73], v[44:45]
	v_fma_f64 v[62:63], v[174:175], s[38:39], -v[62:63]
	v_fma_f64 v[58:59], v[6:7], s[36:37], -v[58:59]
	v_mov_b32_e32 v113, v111
	v_add_f64 v[50:51], v[56:57], v[50:51]
	v_fma_f64 v[56:57], v[10:11], s[10:11], v[52:53]
	v_fma_f64 v[52:53], v[10:11], s[10:11], -v[52:53]
	v_add_f64 v[60:61], v[66:67], v[60:61]
	v_mul_f64 v[66:67], v[14:15], s[30:31]
	v_add_f64 v[62:63], v[186:187], v[62:63]
	v_mov_b32_e32 v112, v110
	v_mov_b32_e32 v111, v109
	v_add_f64 v[50:51], v[54:55], v[50:51]
	v_mul_f64 v[54:55], v[68:69], s[50:51]
	v_mov_b32_e32 v110, v108
	v_add_f64 v[56:57], v[56:57], v[60:61]
	v_fma_f64 v[60:61], v[24:25], s[22:23], v[66:67]
	v_add_f64 v[58:59], v[58:59], v[62:63]
	v_mov_b32_e32 v109, v107
	v_mov_b32_e32 v108, v106
	v_add_f64 v[48:49], v[48:49], v[50:51]
	v_fma_f64 v[50:51], v[252:253], s[34:35], v[54:55]
	v_fma_f64 v[54:55], v[252:253], s[34:35], -v[54:55]
	v_mov_b32_e32 v107, v105
	v_add_f64 v[56:57], v[60:61], v[56:57]
	v_mul_f64 v[60:61], v[254:255], s[60:61]
	v_add_f64 v[52:53], v[52:53], v[58:59]
	v_mov_b32_e32 v106, v104
	v_add_f64 v[48:49], v[64:65], v[48:49]
	v_mul_f64 v[64:65], v[16:17], s[20:21]
	v_mov_b32_e32 v105, v103
	v_mov_b32_e32 v104, v102
	v_add_f64 v[50:51], v[50:51], v[56:57]
	v_fma_f64 v[56:57], v[2:3], s[16:17], v[60:61]
	v_fma_f64 v[60:61], v[2:3], s[16:17], -v[60:61]
	v_mov_b32_e32 v103, v101
	v_add_f64 v[20:21], v[46:47], v[48:49]
	v_fma_f64 v[44:45], v[0:1], s[8:9], v[64:65]
	v_mul_f64 v[48:49], v[114:115], s[42:43]
	buffer_store_dword v20, off, s[64:67], 0 offset:820 ; 4-byte Folded Spill
	s_nop 0
	buffer_store_dword v21, off, s[64:67], 0 offset:824 ; 4-byte Folded Spill
	buffer_store_dword v22, off, s[64:67], 0 offset:828 ; 4-byte Folded Spill
	;; [unrolled: 1-line block ×3, first 2 shown]
	v_add_f64 v[46:47], v[56:57], v[50:51]
	v_mul_f64 v[50:51], v[96:97], s[44:45]
	v_fma_f64 v[64:65], v[0:1], s[8:9], -v[64:65]
	v_mov_b32_e32 v102, v100
	v_mov_b32_e32 v100, v102
	;; [unrolled: 1-line block ×5, first 2 shown]
	v_add_f64 v[44:45], v[44:45], v[46:47]
	v_fma_f64 v[46:47], v[168:169], s[38:39], -v[48:49]
	v_fma_f64 v[56:57], v[172:173], s[36:37], -v[50:51]
	v_fma_f64 v[48:49], v[168:169], s[38:39], v[48:49]
	v_fma_f64 v[50:51], v[172:173], s[36:37], v[50:51]
	v_mov_b32_e32 v104, v106
	v_mov_b32_e32 v105, v107
	;; [unrolled: 1-line block ×4, first 2 shown]
	v_add_f64 v[46:47], v[184:185], v[46:47]
	v_mov_b32_e32 v108, v110
	v_add_f64 v[48:49], v[184:185], v[48:49]
	v_mov_b32_e32 v109, v111
	v_mov_b32_e32 v110, v112
	;; [unrolled: 1-line block ×3, first 2 shown]
	v_add_f64 v[46:47], v[56:57], v[46:47]
	v_mul_f64 v[56:57], v[70:71], s[56:57]
	v_add_f64 v[48:49], v[50:51], v[48:49]
	v_fma_f64 v[72:73], v[160:161], s[10:11], -v[56:57]
	v_fma_f64 v[50:51], v[160:161], s[10:11], v[56:57]
	v_fma_f64 v[56:57], v[24:25], s[22:23], -v[66:67]
	v_add_f64 v[46:47], v[72:73], v[46:47]
	v_mul_f64 v[72:73], v[166:167], s[30:31]
	v_add_f64 v[48:49], v[50:51], v[48:49]
	v_mul_f64 v[50:51], v[36:37], s[60:61]
	v_add_f64 v[52:53], v[56:57], v[52:53]
	v_fma_f64 v[74:75], v[8:9], s[22:23], -v[72:73]
	v_fma_f64 v[58:59], v[8:9], s[22:23], v[72:73]
	v_fma_f64 v[56:57], v[26:27], s[16:17], -v[50:51]
	v_add_f64 v[52:53], v[54:55], v[52:53]
	v_fma_f64 v[50:51], v[26:27], s[16:17], v[50:51]
	v_mul_f64 v[72:73], v[96:97], s[50:51]
	v_add_f64 v[46:47], v[74:75], v[46:47]
	v_mul_f64 v[74:75], v[30:31], s[50:51]
	v_add_f64 v[48:49], v[58:59], v[48:49]
	;; [unrolled: 2-line block ×3, first 2 shown]
	v_fma_f64 v[76:77], v[12:13], s[34:35], -v[74:75]
	v_fma_f64 v[62:63], v[12:13], s[34:35], v[74:75]
	v_fma_f64 v[54:55], v[164:165], s[8:9], -v[58:59]
	v_add_f64 v[52:53], v[64:65], v[52:53]
	v_fma_f64 v[74:75], v[172:173], s[34:35], -v[72:73]
	v_add_f64 v[46:47], v[76:77], v[46:47]
	v_add_f64 v[48:49], v[62:63], v[48:49]
	v_mul_f64 v[62:63], v[34:35], s[26:27]
	v_add_f64 v[46:47], v[56:57], v[46:47]
	v_mul_f64 v[56:57], v[32:33], s[26:27]
	v_fma_f64 v[60:61], v[18:19], s[28:29], -v[62:63]
	v_add_f64 v[48:49], v[50:51], v[48:49]
	v_mul_f64 v[50:51], v[170:171], s[24:25]
	v_add_f64 v[46:47], v[54:55], v[46:47]
	v_fma_f64 v[54:55], v[28:29], s[28:29], v[56:57]
	v_fma_f64 v[56:57], v[28:29], s[28:29], -v[56:57]
	v_add_f64 v[20:21], v[60:61], v[46:47]
	v_add_f64 v[22:23], v[54:55], v[44:45]
	v_fma_f64 v[44:45], v[164:165], s[8:9], v[58:59]
	v_mul_f64 v[46:47], v[162:163], s[50:51]
	v_fma_f64 v[54:55], v[174:175], s[16:17], v[50:51]
	v_fma_f64 v[58:59], v[18:19], s[28:29], v[62:63]
	buffer_store_dword v20, off, s[64:67], 0 offset:836 ; 4-byte Folded Spill
	s_nop 0
	buffer_store_dword v21, off, s[64:67], 0 offset:840 ; 4-byte Folded Spill
	buffer_store_dword v22, off, s[64:67], 0 offset:844 ; 4-byte Folded Spill
	;; [unrolled: 1-line block ×3, first 2 shown]
	v_add_f64 v[44:45], v[44:45], v[48:49]
	v_mul_f64 v[48:49], v[4:5], s[46:47]
	v_fma_f64 v[60:61], v[6:7], s[34:35], v[46:47]
	v_add_f64 v[54:55], v[186:187], v[54:55]
	v_add_f64 v[22:23], v[56:57], v[52:53]
	v_mul_f64 v[62:63], v[254:255], s[48:49]
	v_fma_f64 v[50:51], v[174:175], s[16:17], -v[50:51]
	v_fma_f64 v[46:47], v[6:7], s[34:35], -v[46:47]
	v_add_f64 v[20:21], v[58:59], v[44:45]
	v_fma_f64 v[44:45], v[10:11], s[38:39], v[48:49]
	v_fma_f64 v[48:49], v[10:11], s[38:39], -v[48:49]
	v_add_f64 v[52:53], v[60:61], v[54:55]
	v_mul_f64 v[54:55], v[14:15], s[54:55]
	v_mul_f64 v[60:61], v[68:69], s[30:31]
	v_add_f64 v[50:51], v[186:187], v[50:51]
	buffer_store_dword v20, off, s[64:67], 0 offset:852 ; 4-byte Folded Spill
	s_nop 0
	buffer_store_dword v21, off, s[64:67], 0 offset:856 ; 4-byte Folded Spill
	buffer_store_dword v22, off, s[64:67], 0 offset:860 ; 4-byte Folded Spill
	;; [unrolled: 1-line block ×3, first 2 shown]
	buffer_load_dword v84, off, s[64:67], 0 offset:740 ; 4-byte Folded Reload
	buffer_load_dword v85, off, s[64:67], 0 offset:744 ; 4-byte Folded Reload
	;; [unrolled: 1-line block ×4, first 2 shown]
	v_add_f64 v[44:45], v[44:45], v[52:53]
	v_fma_f64 v[52:53], v[24:25], s[8:9], v[54:55]
	v_fma_f64 v[64:65], v[252:253], s[22:23], v[60:61]
	v_add_f64 v[46:47], v[46:47], v[50:51]
	v_fma_f64 v[50:51], v[172:173], s[34:35], v[72:73]
	v_add_f64 v[56:57], v[186:187], v[246:247]
	v_add_f64 v[58:59], v[184:185], v[244:245]
	v_mul_f64 v[20:21], v[114:115], s[30:31]
	v_mul_f64 v[22:23], v[96:97], s[26:27]
	v_add_f64 v[44:45], v[52:53], v[44:45]
	v_fma_f64 v[52:53], v[2:3], s[36:37], v[62:63]
	v_add_f64 v[46:47], v[48:49], v[46:47]
	v_fma_f64 v[48:49], v[24:25], s[8:9], -v[54:55]
	v_add_f64 v[56:57], v[56:57], v[250:251]
	v_add_f64 v[58:59], v[58:59], v[248:249]
	;; [unrolled: 1-line block ×3, first 2 shown]
	v_mul_f64 v[64:65], v[16:17], s[58:59]
	v_add_f64 v[46:47], v[48:49], v[46:47]
	v_add_f64 v[44:45], v[52:53], v[44:45]
	v_fma_f64 v[52:53], v[0:1], s[28:29], v[64:65]
	v_fma_f64 v[64:65], v[0:1], s[28:29], -v[64:65]
	v_add_f64 v[44:45], v[52:53], v[44:45]
	v_mul_f64 v[52:53], v[114:115], s[24:25]
	v_fma_f64 v[66:67], v[168:169], s[16:17], -v[52:53]
	v_fma_f64 v[48:49], v[168:169], s[16:17], v[52:53]
	v_fma_f64 v[52:53], v[252:253], s[22:23], -v[60:61]
	v_fma_f64 v[60:61], v[2:3], s[36:37], -v[62:63]
	v_mul_f64 v[62:63], v[32:33], s[56:57]
	v_add_f64 v[66:67], v[184:185], v[66:67]
	v_add_f64 v[48:49], v[184:185], v[48:49]
	v_add_f64 v[46:47], v[52:53], v[46:47]
	v_add_f64 v[66:67], v[74:75], v[66:67]
	v_mul_f64 v[74:75], v[70:71], s[46:47]
	v_add_f64 v[48:49], v[50:51], v[48:49]
	v_add_f64 v[46:47], v[60:61], v[46:47]
	v_fma_f64 v[76:77], v[160:161], s[38:39], -v[74:75]
	v_fma_f64 v[50:51], v[160:161], s[38:39], v[74:75]
	v_add_f64 v[46:47], v[64:65], v[46:47]
	v_add_f64 v[66:67], v[76:77], v[66:67]
	v_mul_f64 v[76:77], v[166:167], s[54:55]
	v_add_f64 v[48:49], v[50:51], v[48:49]
	v_fma_f64 v[78:79], v[8:9], s[8:9], -v[76:77]
	v_fma_f64 v[50:51], v[8:9], s[8:9], v[76:77]
	v_add_f64 v[66:67], v[78:79], v[66:67]
	v_mul_f64 v[78:79], v[30:31], s[30:31]
	v_add_f64 v[48:49], v[50:51], v[48:49]
	v_mul_f64 v[50:51], v[36:37], s[48:49]
	v_mul_f64 v[30:31], v[30:31], s[56:57]
	;; [unrolled: 1-line block ×3, first 2 shown]
	v_fma_f64 v[80:81], v[12:13], s[22:23], -v[78:79]
	v_fma_f64 v[54:55], v[12:13], s[22:23], v[78:79]
	v_fma_f64 v[52:53], v[26:27], s[36:37], -v[50:51]
	v_fma_f64 v[50:51], v[26:27], s[36:37], v[50:51]
	v_mul_f64 v[78:79], v[170:171], s[18:19]
	v_add_f64 v[66:67], v[80:81], v[66:67]
	v_add_f64 v[48:49], v[54:55], v[48:49]
	v_mul_f64 v[54:55], v[38:39], s[58:59]
	v_mul_f64 v[38:39], v[38:39], s[24:25]
	;; [unrolled: 1-line block ×3, first 2 shown]
	s_waitcnt vmcnt(2)
	v_add_f64 v[78:79], v[84:85], -v[78:79]
	v_mul_f64 v[84:85], v[8:9], s[16:17]
	v_add_f64 v[52:53], v[52:53], v[66:67]
	v_add_f64 v[48:49], v[50:51], v[48:49]
	v_fma_f64 v[60:61], v[164:165], s[28:29], -v[54:55]
	v_mul_f64 v[50:51], v[34:35], s[56:57]
	v_fma_f64 v[54:55], v[164:165], s[28:29], v[54:55]
	v_fma_f64 v[66:67], v[172:173], s[28:29], -v[22:23]
	s_waitcnt vmcnt(0)
	v_add_f64 v[80:81], v[90:91], -v[80:81]
	buffer_load_dword v90, off, s[64:67], 0 offset:732 ; 4-byte Folded Reload
	buffer_load_dword v91, off, s[64:67], 0 offset:736 ; 4-byte Folded Reload
	v_fma_f64 v[22:23], v[172:173], s[28:29], v[22:23]
	v_add_f64 v[78:79], v[186:187], v[78:79]
	v_add_f64 v[52:53], v[60:61], v[52:53]
	v_fma_f64 v[60:61], v[28:29], s[10:11], v[62:63]
	v_fma_f64 v[64:65], v[18:19], s[10:11], -v[50:51]
	v_fma_f64 v[62:63], v[28:29], s[10:11], -v[62:63]
	v_add_f64 v[48:49], v[54:55], v[48:49]
	v_mul_f64 v[54:55], v[14:15], s[50:51]
	v_mul_f64 v[34:35], v[34:35], s[48:49]
	v_add_f64 v[78:79], v[80:81], v[78:79]
	v_mul_f64 v[80:81], v[26:27], s[38:39]
	v_add_f64 v[246:247], v[60:61], v[44:45]
	v_fma_f64 v[44:45], v[18:19], s[10:11], v[50:51]
	v_mul_f64 v[50:51], v[170:171], s[30:31]
	v_add_f64 v[250:251], v[62:63], v[46:47]
	v_add_f64 v[46:47], v[56:57], v[230:231]
	;; [unrolled: 1-line block ×3, first 2 shown]
	v_fma_f64 v[58:59], v[168:169], s[22:23], -v[20:21]
	v_add_f64 v[244:245], v[64:65], v[52:53]
	v_mul_f64 v[52:53], v[32:33], s[50:51]
	v_add_f64 v[248:249], v[44:45], v[48:49]
	v_mul_f64 v[44:45], v[162:163], s[26:27]
	v_fma_f64 v[48:49], v[174:175], s[22:23], v[50:51]
	s_mov_b32 s51, 0x3fc7851a
	v_mul_f64 v[64:65], v[70:71], s[50:51]
	v_add_f64 v[58:59], v[184:185], v[58:59]
	v_fma_f64 v[50:51], v[174:175], s[22:23], -v[50:51]
	v_mul_f64 v[60:61], v[4:5], s[50:51]
	v_mul_f64 v[70:71], v[14:15], s[46:47]
	v_fma_f64 v[62:63], v[6:7], s[28:29], v[44:45]
	v_add_f64 v[48:49], v[186:187], v[48:49]
	v_fma_f64 v[6:7], v[6:7], s[28:29], -v[44:45]
	v_fma_f64 v[20:21], v[168:169], s[22:23], v[20:21]
	v_add_f64 v[58:59], v[66:67], v[58:59]
	v_mul_f64 v[66:67], v[166:167], s[46:47]
	v_add_f64 v[50:51], v[186:187], v[50:51]
	v_fma_f64 v[72:73], v[10:11], s[34:35], v[60:61]
	v_fma_f64 v[10:11], v[10:11], s[34:35], -v[60:61]
	v_add_f64 v[48:49], v[62:63], v[48:49]
	v_fma_f64 v[62:63], v[160:161], s[34:35], -v[64:65]
	v_fma_f64 v[74:75], v[24:25], s[38:39], v[70:71]
	v_fma_f64 v[24:25], v[24:25], s[38:39], -v[70:71]
	v_add_f64 v[20:21], v[184:185], v[20:21]
	v_add_f64 v[6:7], v[6:7], v[50:51]
	;; [unrolled: 1-line block ×3, first 2 shown]
	v_fma_f64 v[64:65], v[160:161], s[34:35], v[64:65]
	v_add_f64 v[48:49], v[72:73], v[48:49]
	v_add_f64 v[58:59], v[62:63], v[58:59]
	v_fma_f64 v[62:63], v[8:9], s[38:39], -v[66:67]
	v_mul_f64 v[72:73], v[68:69], s[56:57]
	v_mul_f64 v[68:69], v[68:69], s[44:45]
	v_add_f64 v[6:7], v[10:11], v[6:7]
	v_mul_f64 v[10:11], v[172:173], s[10:11]
	v_add_f64 v[20:21], v[22:23], v[20:21]
	v_add_f64 v[48:49], v[74:75], v[48:49]
	v_mul_f64 v[74:75], v[254:255], s[20:21]
	v_add_f64 v[58:59], v[62:63], v[58:59]
	v_fma_f64 v[62:63], v[12:13], s[10:11], -v[30:31]
	v_fma_f64 v[76:77], v[252:253], s[10:11], v[72:73]
	v_fma_f64 v[72:73], v[252:253], s[10:11], -v[72:73]
	v_add_f64 v[6:7], v[24:25], v[6:7]
	v_mul_f64 v[24:25], v[4:5], s[30:31]
	v_mul_f64 v[4:5], v[4:5], s[26:27]
	v_add_f64 v[46:47], v[46:47], v[222:223]
	v_mul_f64 v[50:51], v[170:171], s[20:21]
	v_add_f64 v[58:59], v[62:63], v[58:59]
	v_fma_f64 v[62:63], v[26:27], s[8:9], -v[36:37]
	v_add_f64 v[48:49], v[76:77], v[48:49]
	v_fma_f64 v[76:77], v[2:3], s[8:9], v[74:75]
	v_fma_f64 v[2:3], v[2:3], s[8:9], -v[74:75]
	v_add_f64 v[6:7], v[72:73], v[6:7]
	v_mul_f64 v[72:73], v[8:9], s[34:35]
	v_fma_f64 v[8:9], v[8:9], s[38:39], v[66:67]
	v_mul_f64 v[170:171], v[254:255], s[46:47]
	v_add_f64 v[58:59], v[62:63], v[58:59]
	v_fma_f64 v[62:63], v[164:165], s[16:17], -v[38:39]
	v_add_f64 v[20:21], v[64:65], v[20:21]
	v_add_f64 v[56:57], v[56:57], v[224:225]
	;; [unrolled: 1-line block ×3, first 2 shown]
	s_waitcnt vmcnt(0)
	v_add_f64 v[4:5], v[90:91], -v[4:5]
	v_mul_f64 v[44:45], v[16:17], s[24:25]
	v_add_f64 v[48:49], v[76:77], v[48:49]
	v_mul_f64 v[66:67], v[12:13], s[38:39]
	v_add_f64 v[58:59], v[62:63], v[58:59]
	v_mul_f64 v[62:63], v[172:173], s[16:17]
	buffer_load_dword v172, off, s[64:67], 0 offset:492 ; 4-byte Folded Reload
	buffer_load_dword v173, off, s[64:67], 0 offset:496 ; 4-byte Folded Reload
	;; [unrolled: 1-line block ×6, first 2 shown]
	v_add_f64 v[4:5], v[4:5], v[78:79]
	v_add_f64 v[8:9], v[8:9], v[20:21]
	;; [unrolled: 1-line block ×4, first 2 shown]
	v_fma_f64 v[76:77], v[0:1], s[16:17], v[44:45]
	v_mul_f64 v[22:23], v[16:17], s[48:49]
	v_mul_f64 v[16:17], v[16:17], s[52:53]
	v_fma_f64 v[0:1], v[0:1], s[16:17], -v[44:45]
	v_mul_f64 v[166:167], v[26:27], s[28:29]
	v_fma_f64 v[26:27], v[26:27], s[8:9], v[36:37]
	v_mul_f64 v[78:79], v[32:33], s[48:49]
	v_mul_f64 v[32:33], v[32:33], s[54:55]
	v_add_f64 v[48:49], v[76:77], v[48:49]
	v_mul_f64 v[76:77], v[162:163], s[18:19]
	v_mul_f64 v[162:163], v[12:13], s[36:37]
	v_fma_f64 v[12:13], v[12:13], s[10:11], v[30:31]
	v_add_f64 v[30:31], v[56:57], v[188:189]
	v_add_f64 v[0:1], v[0:1], v[2:3]
	v_add_f64 v[2:3], v[98:99], -v[16:17]
	v_fma_f64 v[44:45], v[18:19], s[36:37], -v[34:35]
	v_fma_f64 v[16:17], v[18:19], s[36:37], v[34:35]
	v_mul_f64 v[60:61], v[168:169], s[8:9]
	v_mul_f64 v[70:71], v[168:169], s[10:11]
	v_add_f64 v[8:9], v[12:13], v[8:9]
	v_add_f64 v[12:13], v[30:31], v[192:193]
	v_mul_f64 v[64:65], v[18:19], s[34:35]
	v_mul_f64 v[14:15], v[14:15], s[24:25]
	;; [unrolled: 1-line block ×5, first 2 shown]
	v_add_f64 v[8:9], v[26:27], v[8:9]
	s_waitcnt vmcnt(4)
	v_add_f64 v[54:55], v[172:173], -v[54:55]
	s_waitcnt vmcnt(2)
	v_add_f64 v[68:69], v[174:175], -v[68:69]
	;; [unrolled: 2-line block ×3, first 2 shown]
	v_mul_f64 v[174:175], v[18:19], s[8:9]
	v_fma_f64 v[18:19], v[164:165], s[16:17], v[38:39]
	v_mul_f64 v[172:173], v[164:165], s[22:23]
	v_add_f64 v[4:5], v[54:55], v[4:5]
	v_fma_f64 v[54:55], v[28:29], s[36:37], v[78:79]
	v_fma_f64 v[28:29], v[28:29], s[36:37], -v[78:79]
	v_add_f64 v[18:19], v[18:19], v[8:9]
	v_add_f64 v[4:5], v[68:69], v[4:5]
	;; [unrolled: 1-line block ×4, first 2 shown]
	buffer_load_dword v20, off, s[64:67], 0 offset:580 ; 4-byte Folded Reload
	buffer_load_dword v21, off, s[64:67], 0 offset:584 ; 4-byte Folded Reload
	buffer_load_dword v26, off, s[64:67], 0 offset:668 ; 4-byte Folded Reload
	buffer_load_dword v27, off, s[64:67], 0 offset:672 ; 4-byte Folded Reload
	v_add_f64 v[4:5], v[2:3], v[4:5]
	v_add_f64 v[2:3], v[6:7], v[198:199]
	;; [unrolled: 1-line block ×3, first 2 shown]
	buffer_load_dword v12, off, s[64:67], 0 offset:628 ; 4-byte Folded Reload
	buffer_load_dword v13, off, s[64:67], 0 offset:632 ; 4-byte Folded Reload
	;; [unrolled: 1-line block ×4, first 2 shown]
	v_add_f64 v[2:3], v[2:3], v[202:203]
	v_add_f64 v[6:7], v[6:7], v[200:201]
	;; [unrolled: 1-line block ×12, first 2 shown]
	s_waitcnt vmcnt(6)
	v_add_f64 v[20:21], v[20:21], -v[32:33]
	buffer_load_dword v32, off, s[64:67], 0 offset:660 ; 4-byte Folded Reload
	buffer_load_dword v33, off, s[64:67], 0 offset:664 ; 4-byte Folded Reload
	;; [unrolled: 1-line block ×6, first 2 shown]
	s_waitcnt vmcnt(10)
	v_add_f64 v[26:27], v[26:27], -v[50:51]
	s_waitcnt vmcnt(8)
	v_add_f64 v[12:13], v[60:61], v[12:13]
	s_waitcnt vmcnt(6)
	v_add_f64 v[30:31], v[70:71], v[30:31]
	v_add_f64 v[26:27], v[186:187], v[26:27]
	;; [unrolled: 1-line block ×4, first 2 shown]
	s_waitcnt vmcnt(4)
	v_add_f64 v[32:33], v[62:63], v[32:33]
	s_waitcnt vmcnt(2)
	v_add_f64 v[34:35], v[34:35], -v[76:77]
	s_waitcnt vmcnt(0)
	v_add_f64 v[10:11], v[10:11], v[36:37]
	buffer_load_dword v36, off, s[64:67], 0 offset:652 ; 4-byte Folded Reload
	buffer_load_dword v37, off, s[64:67], 0 offset:656 ; 4-byte Folded Reload
	;; [unrolled: 1-line block ×4, first 2 shown]
	v_add_f64 v[26:27], v[34:35], v[26:27]
	v_add_f64 v[10:11], v[10:11], v[12:13]
	;; [unrolled: 1-line block ×3, first 2 shown]
	buffer_load_dword v30, off, s[64:67], 0 offset:716 ; 4-byte Folded Reload
	buffer_load_dword v31, off, s[64:67], 0 offset:720 ; 4-byte Folded Reload
	;; [unrolled: 1-line block ×4, first 2 shown]
	v_add_f64 v[34:35], v[82:83], v[88:89]
	v_add_f64 v[10:11], v[34:35], v[10:11]
	s_waitcnt vmcnt(6)
	v_add_f64 v[36:37], v[74:75], v[36:37]
	s_waitcnt vmcnt(4)
	v_add_f64 v[24:25], v[38:39], -v[24:25]
	v_add_f64 v[12:13], v[36:37], v[12:13]
	v_add_f64 v[24:25], v[24:25], v[26:27]
	s_waitcnt vmcnt(0)
	v_add_f64 v[14:15], v[32:33], -v[14:15]
	buffer_load_dword v26, off, s[64:67], 0 offset:692 ; 4-byte Folded Reload
	buffer_load_dword v27, off, s[64:67], 0 offset:696 ; 4-byte Folded Reload
	;; [unrolled: 1-line block ×6, first 2 shown]
	v_add_f64 v[30:31], v[72:73], v[30:31]
	v_add_f64 v[36:37], v[6:7], v[236:237]
	;; [unrolled: 1-line block ×5, first 2 shown]
	s_waitcnt vmcnt(4)
	v_add_f64 v[26:27], v[84:85], v[26:27]
	s_waitcnt vmcnt(2)
	v_add_f64 v[32:33], v[162:163], v[32:33]
	s_waitcnt vmcnt(0)
	v_add_f64 v[34:35], v[34:35], -v[86:87]
	buffer_load_dword v84, off, s[64:67], 0 offset:596 ; 4-byte Folded Reload
	buffer_load_dword v85, off, s[64:67], 0 offset:600 ; 4-byte Folded Reload
	;; [unrolled: 1-line block ×6, first 2 shown]
	v_add_f64 v[10:11], v[26:27], v[10:11]
	buffer_load_dword v26, off, s[64:67], 0 offset:516 ; 4-byte Folded Reload
	buffer_load_dword v27, off, s[64:67], 0 offset:520 ; 4-byte Folded Reload
	;; [unrolled: 1-line block ×4, first 2 shown]
	v_add_f64 v[14:15], v[34:35], v[14:15]
	buffer_load_dword v34, off, s[64:67], 0 offset:500 ; 4-byte Folded Reload
	buffer_load_dword v35, off, s[64:67], 0 offset:504 ; 4-byte Folded Reload
	v_add_f64 v[12:13], v[32:33], v[12:13]
	s_waitcnt vmcnt(6)
	v_add_f64 v[24:25], v[66:67], v[24:25]
	s_waitcnt vmcnt(4)
	;; [unrolled: 2-line block ×3, first 2 shown]
	v_add_f64 v[30:31], v[30:31], -v[168:169]
	v_add_f64 v[10:11], v[24:25], v[10:11]
	buffer_load_dword v24, off, s[64:67], 0 offset:548 ; 4-byte Folded Reload
	buffer_load_dword v25, off, s[64:67], 0 offset:552 ; 4-byte Folded Reload
	;; [unrolled: 1-line block ×4, first 2 shown]
	s_waitcnt vmcnt(4)
	v_add_f64 v[34:35], v[166:167], v[34:35]
	v_add_f64 v[12:13], v[26:27], v[12:13]
	;; [unrolled: 1-line block ×3, first 2 shown]
	buffer_load_dword v30, off, s[64:67], 0 offset:532 ; 4-byte Folded Reload
	buffer_load_dword v31, off, s[64:67], 0 offset:536 ; 4-byte Folded Reload
	;; [unrolled: 1-line block ×4, first 2 shown]
	v_add_f64 v[10:11], v[34:35], v[10:11]
	v_add_f64 v[34:35], v[2:3], v[238:239]
	;; [unrolled: 1-line block ×6, first 2 shown]
	s_waitcnt vmcnt(6)
	v_add_f64 v[24:25], v[172:173], v[24:25]
	s_waitcnt vmcnt(4)
	v_add_f64 v[22:23], v[32:33], -v[22:23]
	buffer_load_dword v32, off, s[64:67], 0 offset:572 ; 4-byte Folded Reload
	buffer_load_dword v33, off, s[64:67], 0 offset:576 ; 4-byte Folded Reload
	s_waitcnt vmcnt(4)
	v_add_f64 v[30:31], v[160:161], v[30:31]
	s_waitcnt vmcnt(2)
	v_add_f64 v[26:27], v[174:175], v[26:27]
	v_add_f64 v[24:25], v[24:25], v[12:13]
	;; [unrolled: 1-line block ×3, first 2 shown]
	buffer_load_dword v22, off, s[64:67], 0 offset:564 ; 4-byte Folded Reload
	buffer_load_dword v23, off, s[64:67], 0 offset:568 ; 4-byte Folded Reload
	;; [unrolled: 1-line block ×3, first 2 shown]
	v_add_f64 v[12:13], v[36:37], v[240:241]
	v_add_f64 v[30:31], v[30:31], v[10:11]
	;; [unrolled: 1-line block ×3, first 2 shown]
	s_waitcnt vmcnt(3)
	v_add_f64 v[32:33], v[32:33], -v[52:53]
	s_waitcnt vmcnt(1)
	v_add_f64 v[22:23], v[64:65], v[22:23]
	v_add_f64 v[10:11], v[32:33], v[14:15]
	;; [unrolled: 1-line block ×3, first 2 shown]
	s_waitcnt vmcnt(0)
	v_mul_lo_u16_e32 v20, 17, v20
	v_lshlrev_b32_e32 v20, 4, v20
	v_add_f64 v[8:9], v[22:23], v[30:31]
	ds_write_b128 v20, v[12:15]
	ds_write_b128 v20, v[8:11] offset:16
	ds_write_b128 v20, v[4:7] offset:32
	;; [unrolled: 1-line block ×4, first 2 shown]
	buffer_load_dword v0, off, s[64:67], 0 offset:852 ; 4-byte Folded Reload
	buffer_load_dword v1, off, s[64:67], 0 offset:856 ; 4-byte Folded Reload
	buffer_load_dword v2, off, s[64:67], 0 offset:860 ; 4-byte Folded Reload
	buffer_load_dword v3, off, s[64:67], 0 offset:864 ; 4-byte Folded Reload
	s_waitcnt vmcnt(0)
	ds_write_b128 v20, v[0:3] offset:80
	buffer_load_dword v0, off, s[64:67], 0 offset:820 ; 4-byte Folded Reload
	buffer_load_dword v1, off, s[64:67], 0 offset:824 ; 4-byte Folded Reload
	buffer_load_dword v2, off, s[64:67], 0 offset:828 ; 4-byte Folded Reload
	buffer_load_dword v3, off, s[64:67], 0 offset:832 ; 4-byte Folded Reload
	s_waitcnt vmcnt(0)
	ds_write_b128 v20, v[0:3] offset:96
	;; [unrolled: 6-line block ×8, first 2 shown]
	ds_write_b128 v20, v[244:247] offset:208
	ds_write_b128 v20, v[16:19] offset:224
	;; [unrolled: 1-line block ×4, first 2 shown]
.LBB0_17:
	s_or_b64 exec, exec, s[40:41]
	s_waitcnt lgkmcnt(0)
	s_barrier
	ds_read_b128 v[0:3], v134
	ds_read_b128 v[4:7], v134 offset:9520
	ds_read_b128 v[8:11], v134 offset:19040
	;; [unrolled: 1-line block ×14, first 2 shown]
	s_waitcnt lgkmcnt(13)
	v_mul_f64 v[44:45], v[130:131], v[6:7]
	s_mov_b32 s8, 0xe8584caa
	s_mov_b32 s9, 0xbfebb67a
	;; [unrolled: 1-line block ×4, first 2 shown]
	s_waitcnt lgkmcnt(0)
	s_barrier
	v_fma_f64 v[44:45], v[128:129], v[4:5], v[44:45]
	v_mul_f64 v[4:5], v[130:131], v[4:5]
	s_mov_b32 s16, 0x134454ff
	s_mov_b32 s17, 0xbfee6f0e
	;; [unrolled: 1-line block ×5, first 2 shown]
	v_fma_f64 v[46:47], v[128:129], v[6:7], -v[4:5]
	v_mul_f64 v[4:5], v[122:123], v[10:11]
	v_fma_f64 v[48:49], v[120:121], v[8:9], v[4:5]
	v_mul_f64 v[4:5], v[122:123], v[8:9]
	v_add_f64 v[6:7], v[44:45], v[48:49]
	v_fma_f64 v[10:11], v[120:121], v[10:11], -v[4:5]
	v_mul_f64 v[4:5], v[138:139], v[18:19]
	v_fma_f64 v[6:7], v[6:7], -0.5, v[0:1]
	v_add_f64 v[8:9], v[46:47], -v[10:11]
	v_fma_f64 v[50:51], v[136:137], v[16:17], v[4:5]
	v_mul_f64 v[4:5], v[138:139], v[16:17]
	v_add_f64 v[16:17], v[44:45], -v[48:49]
	v_fma_f64 v[52:53], v[136:137], v[18:19], -v[4:5]
	v_mul_f64 v[4:5], v[126:127], v[22:23]
	v_fma_f64 v[54:55], v[124:125], v[20:21], v[4:5]
	v_mul_f64 v[4:5], v[126:127], v[20:21]
	v_add_f64 v[18:19], v[50:51], v[54:55]
	v_fma_f64 v[22:23], v[124:125], v[22:23], -v[4:5]
	v_mul_f64 v[4:5], v[146:147], v[30:31]
	v_fma_f64 v[18:19], v[18:19], -0.5, v[12:13]
	v_add_f64 v[20:21], v[52:53], -v[22:23]
	v_fma_f64 v[56:57], v[144:145], v[28:29], v[4:5]
	v_mul_f64 v[4:5], v[146:147], v[28:29]
	v_add_f64 v[28:29], v[50:51], -v[54:55]
	v_fma_f64 v[58:59], v[144:145], v[30:31], -v[4:5]
	v_mul_f64 v[4:5], v[42:43], v[34:35]
	v_fma_f64 v[60:61], v[40:41], v[32:33], v[4:5]
	v_mul_f64 v[4:5], v[42:43], v[32:33]
	v_add_f64 v[30:31], v[56:57], v[60:61]
	v_fma_f64 v[34:35], v[40:41], v[34:35], -v[4:5]
	v_mul_f64 v[4:5], v[150:151], v[70:71]
	v_add_f64 v[40:41], v[56:57], -v[60:61]
	v_fma_f64 v[30:31], v[30:31], -0.5, v[24:25]
	v_add_f64 v[32:33], v[58:59], -v[34:35]
	v_fma_f64 v[62:63], v[148:149], v[68:69], v[4:5]
	v_mul_f64 v[4:5], v[150:151], v[68:69]
	v_fma_f64 v[64:65], v[148:149], v[70:71], -v[4:5]
	v_mul_f64 v[4:5], v[142:143], v[162:163]
	v_fma_f64 v[66:67], v[140:141], v[160:161], v[4:5]
	v_mul_f64 v[4:5], v[142:143], v[160:161]
	v_add_f64 v[42:43], v[62:63], v[66:67]
	v_fma_f64 v[70:71], v[140:141], v[162:163], -v[4:5]
	v_mul_f64 v[4:5], v[158:159], v[170:171]
	v_fma_f64 v[42:43], v[42:43], -0.5, v[36:37]
	v_fma_f64 v[72:73], v[156:157], v[168:169], v[4:5]
	v_mul_f64 v[4:5], v[158:159], v[168:169]
	v_fma_f64 v[74:75], v[156:157], v[170:171], -v[4:5]
	v_mul_f64 v[4:5], v[154:155], v[174:175]
	v_fma_f64 v[76:77], v[152:153], v[172:173], v[4:5]
	v_mul_f64 v[4:5], v[154:155], v[172:173]
	v_fma_f64 v[78:79], v[152:153], v[174:175], -v[4:5]
	v_add_f64 v[4:5], v[0:1], v[44:45]
	v_fma_f64 v[0:1], v[8:9], s[8:9], v[6:7]
	v_fma_f64 v[8:9], v[8:9], s[10:11], v[6:7]
	v_add_f64 v[6:7], v[2:3], v[46:47]
	v_add_f64 v[44:45], v[64:65], -v[70:71]
	v_add_f64 v[4:5], v[4:5], v[48:49]
	v_add_f64 v[6:7], v[6:7], v[10:11]
	;; [unrolled: 1-line block ×3, first 2 shown]
	v_fma_f64 v[68:69], v[44:45], s[10:11], v[42:43]
	v_add_f64 v[46:47], v[62:63], -v[66:67]
	v_fma_f64 v[10:11], v[10:11], -0.5, v[2:3]
	v_fma_f64 v[2:3], v[16:17], s[10:11], v[10:11]
	v_fma_f64 v[10:11], v[16:17], s[8:9], v[10:11]
	v_add_f64 v[16:17], v[12:13], v[50:51]
	v_fma_f64 v[12:13], v[20:21], s[8:9], v[18:19]
	v_fma_f64 v[20:21], v[20:21], s[10:11], v[18:19]
	v_add_f64 v[18:19], v[14:15], v[52:53]
	v_add_f64 v[16:17], v[16:17], v[54:55]
	;; [unrolled: 1-line block ×4, first 2 shown]
	v_fma_f64 v[22:23], v[22:23], -0.5, v[14:15]
	v_fma_f64 v[14:15], v[28:29], s[10:11], v[22:23]
	v_fma_f64 v[22:23], v[28:29], s[8:9], v[22:23]
	v_add_f64 v[28:29], v[24:25], v[56:57]
	v_fma_f64 v[24:25], v[32:33], s[8:9], v[30:31]
	v_fma_f64 v[32:33], v[32:33], s[10:11], v[30:31]
	v_add_f64 v[30:31], v[26:27], v[58:59]
	v_add_f64 v[28:29], v[28:29], v[60:61]
	;; [unrolled: 1-line block ×4, first 2 shown]
	v_fma_f64 v[34:35], v[34:35], -0.5, v[26:27]
	v_fma_f64 v[26:27], v[40:41], s[10:11], v[34:35]
	v_fma_f64 v[34:35], v[40:41], s[8:9], v[34:35]
	v_add_f64 v[40:41], v[36:37], v[62:63]
	v_fma_f64 v[36:37], v[44:45], s[8:9], v[42:43]
	v_add_f64 v[44:45], v[64:65], v[70:71]
	v_add_f64 v[42:43], v[38:39], v[64:65]
	;; [unrolled: 1-line block ×3, first 2 shown]
	v_fma_f64 v[44:45], v[44:45], -0.5, v[38:39]
	v_add_f64 v[42:43], v[42:43], v[70:71]
	v_fma_f64 v[38:39], v[46:47], s[10:11], v[44:45]
	v_fma_f64 v[70:71], v[46:47], s[8:9], v[44:45]
	v_add_f64 v[44:45], v[164:165], v[72:73]
	v_add_f64 v[46:47], v[74:75], -v[78:79]
	v_add_f64 v[120:121], v[44:45], v[76:77]
	v_add_f64 v[44:45], v[72:73], v[76:77]
	v_fma_f64 v[44:45], v[44:45], -0.5, v[164:165]
	v_fma_f64 v[124:125], v[46:47], s[8:9], v[44:45]
	v_fma_f64 v[128:129], v[46:47], s[10:11], v[44:45]
	v_add_f64 v[44:45], v[166:167], v[74:75]
	v_add_f64 v[46:47], v[72:73], -v[76:77]
	v_add_f64 v[122:123], v[44:45], v[78:79]
	v_add_f64 v[44:45], v[74:75], v[78:79]
	v_fma_f64 v[44:45], v[44:45], -0.5, v[166:167]
	v_fma_f64 v[126:127], v[46:47], s[10:11], v[44:45]
	v_fma_f64 v[130:131], v[46:47], s[8:9], v[44:45]
	buffer_load_dword v44, off, s[64:67], 0 offset:272 ; 4-byte Folded Reload
	s_mov_b32 s10, 0x4755a5e
	s_mov_b32 s11, 0xbfe2cf23
	;; [unrolled: 1-line block ×5, first 2 shown]
	s_waitcnt vmcnt(0)
	ds_write_b128 v44, v[4:7]
	ds_write_b128 v44, v[0:3] offset:272
	ds_write_b128 v44, v[8:11] offset:544
	buffer_load_dword v0, off, s[64:67], 0 offset:276 ; 4-byte Folded Reload
	s_waitcnt vmcnt(0)
	ds_write_b128 v0, v[16:19]
	ds_write_b128 v0, v[12:15] offset:272
	ds_write_b128 v0, v[20:23] offset:544
	buffer_load_dword v0, off, s[64:67], 0 offset:280 ; 4-byte Folded Reload
	;; [unrolled: 5-line block ×4, first 2 shown]
	s_waitcnt vmcnt(0)
	ds_write_b128 v0, v[120:123]
	ds_write_b128 v0, v[124:127] offset:272
	ds_write_b128 v0, v[128:131] offset:544
	s_waitcnt lgkmcnt(0)
	s_barrier
	ds_read_b128 v[128:131], v134
	ds_read_b128 v[0:3], v134 offset:5712
	ds_read_b128 v[4:7], v134 offset:11424
	;; [unrolled: 1-line block ×14, first 2 shown]
	buffer_load_dword v26, off, s[64:67], 0 offset:340 ; 4-byte Folded Reload
	buffer_load_dword v27, off, s[64:67], 0 offset:344 ; 4-byte Folded Reload
	;; [unrolled: 1-line block ×4, first 2 shown]
	s_waitcnt vmcnt(0) lgkmcnt(13)
	v_mul_f64 v[24:25], v[28:29], v[2:3]
	v_fma_f64 v[42:43], v[26:27], v[0:1], v[24:25]
	v_mul_f64 v[0:1], v[28:29], v[0:1]
	v_fma_f64 v[44:45], v[26:27], v[2:3], -v[0:1]
	buffer_load_dword v24, off, s[64:67], 0 offset:324 ; 4-byte Folded Reload
	buffer_load_dword v25, off, s[64:67], 0 offset:328 ; 4-byte Folded Reload
	;; [unrolled: 1-line block ×4, first 2 shown]
	s_waitcnt vmcnt(0) lgkmcnt(12)
	v_mul_f64 v[0:1], v[26:27], v[6:7]
	v_fma_f64 v[46:47], v[24:25], v[4:5], v[0:1]
	v_mul_f64 v[0:1], v[26:27], v[4:5]
	buffer_load_dword v2, off, s[64:67], 0 offset:288 ; 4-byte Folded Reload
	buffer_load_dword v3, off, s[64:67], 0 offset:292 ; 4-byte Folded Reload
	;; [unrolled: 1-line block ×4, first 2 shown]
	v_fma_f64 v[48:49], v[24:25], v[6:7], -v[0:1]
	s_waitcnt lgkmcnt(0)
	v_mul_f64 v[6:7], v[106:107], v[142:143]
	s_waitcnt vmcnt(0)
	v_mul_f64 v[0:1], v[4:5], v[10:11]
	v_fma_f64 v[50:51], v[2:3], v[8:9], v[0:1]
	v_mul_f64 v[0:1], v[4:5], v[8:9]
	v_fma_f64 v[52:53], v[2:3], v[10:11], -v[0:1]
	buffer_load_dword v2, off, s[64:67], 0 offset:372 ; 4-byte Folded Reload
	buffer_load_dword v3, off, s[64:67], 0 offset:376 ; 4-byte Folded Reload
	buffer_load_dword v4, off, s[64:67], 0 offset:380 ; 4-byte Folded Reload
	buffer_load_dword v5, off, s[64:67], 0 offset:384 ; 4-byte Folded Reload
	v_mul_f64 v[0:1], v[86:87], v[14:15]
	v_fma_f64 v[54:55], v[84:85], v[12:13], v[0:1]
	v_mul_f64 v[0:1], v[86:87], v[12:13]
	v_add_f64 v[58:59], v[54:55], -v[50:51]
	v_fma_f64 v[56:57], v[84:85], v[14:15], -v[0:1]
	v_mul_f64 v[0:1], v[102:103], v[18:19]
	v_fma_f64 v[14:15], v[104:105], v[140:141], v[6:7]
	v_mul_f64 v[6:7], v[106:107], v[140:141]
	v_fma_f64 v[24:25], v[100:101], v[16:17], v[0:1]
	v_mul_f64 v[0:1], v[102:103], v[16:17]
	v_fma_f64 v[6:7], v[104:105], v[142:143], -v[6:7]
	v_fma_f64 v[16:17], v[100:101], v[18:19], -v[0:1]
	s_waitcnt vmcnt(0)
	v_mul_f64 v[0:1], v[4:5], v[22:23]
	v_fma_f64 v[26:27], v[2:3], v[20:21], v[0:1]
	v_mul_f64 v[0:1], v[4:5], v[20:21]
	v_fma_f64 v[18:19], v[2:3], v[22:23], -v[0:1]
	buffer_load_dword v2, off, s[64:67], 0 offset:356 ; 4-byte Folded Reload
	buffer_load_dword v3, off, s[64:67], 0 offset:360 ; 4-byte Folded Reload
	;; [unrolled: 1-line block ×4, first 2 shown]
	s_waitcnt vmcnt(0)
	v_mul_f64 v[0:1], v[4:5], v[32:33]
	v_fma_f64 v[28:29], v[2:3], v[30:31], v[0:1]
	v_mul_f64 v[0:1], v[4:5], v[30:31]
	v_add_f64 v[30:31], v[128:129], v[42:43]
	v_fma_f64 v[20:21], v[2:3], v[32:33], -v[0:1]
	buffer_load_dword v2, off, s[64:67], 0 offset:308 ; 4-byte Folded Reload
	buffer_load_dword v3, off, s[64:67], 0 offset:312 ; 4-byte Folded Reload
	;; [unrolled: 1-line block ×4, first 2 shown]
	v_add_f64 v[30:31], v[30:31], v[46:47]
	s_waitcnt vmcnt(0)
	s_barrier
	v_add_f64 v[30:31], v[30:31], v[50:51]
	v_add_f64 v[76:77], v[30:31], v[54:55]
	v_add_f64 v[30:31], v[46:47], v[50:51]
	v_fma_f64 v[30:31], v[30:31], -0.5, v[128:129]
	v_mul_f64 v[0:1], v[4:5], v[36:37]
	v_fma_f64 v[32:33], v[2:3], v[34:35], v[0:1]
	v_mul_f64 v[0:1], v[4:5], v[34:35]
	v_add_f64 v[34:35], v[44:45], -v[56:57]
	v_mul_f64 v[4:5], v[110:111], v[138:139]
	v_fma_f64 v[22:23], v[2:3], v[36:37], -v[0:1]
	v_mul_f64 v[0:1], v[118:119], v[40:41]
	v_fma_f64 v[36:37], v[34:35], s[16:17], v[30:31]
	v_fma_f64 v[30:31], v[34:35], s[18:19], v[30:31]
	v_mul_f64 v[2:3], v[94:95], v[70:71]
	v_fma_f64 v[12:13], v[108:109], v[136:137], v[4:5]
	v_mul_f64 v[4:5], v[110:111], v[136:137]
	;; [unrolled: 2-line block ×3, first 2 shown]
	v_add_f64 v[38:39], v[48:49], -v[52:53]
	v_fma_f64 v[10:11], v[92:93], v[68:69], v[2:3]
	v_mul_f64 v[2:3], v[94:95], v[68:69]
	v_fma_f64 v[4:5], v[108:109], v[138:139], -v[4:5]
	v_fma_f64 v[0:1], v[116:117], v[40:41], -v[0:1]
	v_add_f64 v[40:41], v[42:43], -v[46:47]
	v_fma_f64 v[30:31], v[38:39], s[20:21], v[30:31]
	v_fma_f64 v[36:37], v[38:39], s[10:11], v[36:37]
	v_fma_f64 v[2:3], v[92:93], v[70:71], -v[2:3]
	v_add_f64 v[40:41], v[40:41], v[58:59]
	v_add_f64 v[58:59], v[50:51], -v[54:55]
	v_fma_f64 v[80:81], v[40:41], s[8:9], v[30:31]
	v_add_f64 v[30:31], v[42:43], v[54:55]
	v_fma_f64 v[84:85], v[40:41], s[8:9], v[36:37]
	v_add_f64 v[40:41], v[46:47], -v[42:43]
	v_fma_f64 v[30:31], v[30:31], -0.5, v[128:129]
	v_add_f64 v[40:41], v[40:41], v[58:59]
	v_fma_f64 v[36:37], v[38:39], s[18:19], v[30:31]
	v_fma_f64 v[30:31], v[38:39], s[16:17], v[30:31]
	v_add_f64 v[38:39], v[46:47], -v[50:51]
	v_fma_f64 v[36:37], v[34:35], s[10:11], v[36:37]
	v_fma_f64 v[30:31], v[34:35], s[20:21], v[30:31]
	v_add_f64 v[34:35], v[42:43], -v[54:55]
	v_add_f64 v[42:43], v[56:57], -v[52:53]
	v_fma_f64 v[92:93], v[40:41], s[8:9], v[36:37]
	v_fma_f64 v[88:89], v[40:41], s[8:9], v[30:31]
	v_add_f64 v[30:31], v[130:131], v[44:45]
	v_add_f64 v[40:41], v[44:45], -v[48:49]
	v_add_f64 v[30:31], v[30:31], v[48:49]
	v_add_f64 v[40:41], v[40:41], v[42:43]
	v_add_f64 v[42:43], v[52:53], -v[56:57]
	v_add_f64 v[30:31], v[30:31], v[52:53]
	v_add_f64 v[78:79], v[30:31], v[56:57]
	;; [unrolled: 1-line block ×3, first 2 shown]
	v_fma_f64 v[30:31], v[30:31], -0.5, v[130:131]
	v_fma_f64 v[36:37], v[34:35], s[18:19], v[30:31]
	v_fma_f64 v[30:31], v[34:35], s[16:17], v[30:31]
	v_fma_f64 v[36:37], v[38:39], s[20:21], v[36:37]
	v_fma_f64 v[30:31], v[38:39], s[10:11], v[30:31]
	v_fma_f64 v[86:87], v[40:41], s[8:9], v[36:37]
	v_fma_f64 v[82:83], v[40:41], s[8:9], v[30:31]
	v_add_f64 v[30:31], v[44:45], v[56:57]
	v_add_f64 v[40:41], v[48:49], -v[44:45]
	v_fma_f64 v[30:31], v[30:31], -0.5, v[130:131]
	v_add_f64 v[40:41], v[40:41], v[42:43]
	v_add_f64 v[42:43], v[32:33], -v[28:29]
	v_fma_f64 v[36:37], v[38:39], s[16:17], v[30:31]
	v_fma_f64 v[30:31], v[38:39], s[18:19], v[30:31]
	v_add_f64 v[38:39], v[18:19], -v[20:21]
	v_fma_f64 v[36:37], v[34:35], s[20:21], v[36:37]
	v_fma_f64 v[30:31], v[34:35], s[10:11], v[30:31]
	;; [unrolled: 3-line block ×3, first 2 shown]
	v_add_f64 v[30:31], v[124:125], v[24:25]
	v_add_f64 v[40:41], v[24:25], -v[26:27]
	v_add_f64 v[30:31], v[30:31], v[26:27]
	v_add_f64 v[40:41], v[40:41], v[42:43]
	v_add_f64 v[42:43], v[28:29], -v[32:33]
	v_add_f64 v[30:31], v[30:31], v[28:29]
	v_add_f64 v[96:97], v[30:31], v[32:33]
	;; [unrolled: 1-line block ×3, first 2 shown]
	v_fma_f64 v[30:31], v[30:31], -0.5, v[124:125]
	v_fma_f64 v[36:37], v[34:35], s[16:17], v[30:31]
	v_fma_f64 v[30:31], v[34:35], s[18:19], v[30:31]
	;; [unrolled: 1-line block ×6, first 2 shown]
	v_add_f64 v[30:31], v[24:25], v[32:33]
	v_add_f64 v[40:41], v[26:27], -v[24:25]
	v_add_f64 v[24:25], v[24:25], -v[32:33]
	;; [unrolled: 1-line block ×3, first 2 shown]
	v_fma_f64 v[36:37], v[30:31], -0.5, v[124:125]
	v_add_f64 v[40:41], v[40:41], v[42:43]
	v_fma_f64 v[30:31], v[38:39], s[18:19], v[36:37]
	v_fma_f64 v[36:37], v[38:39], s[16:17], v[36:37]
	v_add_f64 v[38:39], v[22:23], -v[20:21]
	v_fma_f64 v[30:31], v[34:35], s[10:11], v[30:31]
	v_fma_f64 v[34:35], v[34:35], s[20:21], v[36:37]
	v_add_f64 v[36:37], v[126:127], v[16:17]
	v_fma_f64 v[30:31], v[40:41], s[8:9], v[30:31]
	v_fma_f64 v[34:35], v[40:41], s[8:9], v[34:35]
	v_add_f64 v[36:37], v[36:37], v[18:19]
	v_add_f64 v[36:37], v[36:37], v[20:21]
	;; [unrolled: 1-line block ×4, first 2 shown]
	v_fma_f64 v[36:37], v[36:37], -0.5, v[126:127]
	v_fma_f64 v[32:33], v[24:25], s[18:19], v[36:37]
	v_fma_f64 v[28:29], v[26:27], s[20:21], v[32:33]
	v_add_f64 v[32:33], v[16:17], -v[18:19]
	v_add_f64 v[32:33], v[32:33], v[38:39]
	v_add_f64 v[38:39], v[12:13], -v[14:15]
	v_fma_f64 v[106:107], v[32:33], s[8:9], v[28:29]
	v_fma_f64 v[28:29], v[24:25], s[16:17], v[36:37]
	;; [unrolled: 1-line block ×4, first 2 shown]
	v_add_f64 v[28:29], v[16:17], v[22:23]
	v_add_f64 v[16:17], v[18:19], -v[16:17]
	v_add_f64 v[18:19], v[20:21], -v[22:23]
	;; [unrolled: 1-line block ×3, first 2 shown]
	v_fma_f64 v[28:29], v[28:29], -0.5, v[126:127]
	v_add_f64 v[16:17], v[16:17], v[18:19]
	v_fma_f64 v[18:19], v[26:27], s[18:19], v[28:29]
	v_fma_f64 v[32:33], v[26:27], s[16:17], v[28:29]
	v_add_f64 v[26:27], v[2:3], -v[4:5]
	v_add_f64 v[28:29], v[14:15], -v[12:13]
	v_fma_f64 v[18:19], v[24:25], s[10:11], v[18:19]
	v_fma_f64 v[32:33], v[24:25], s[20:21], v[32:33]
	v_add_f64 v[24:25], v[8:9], -v[10:11]
	v_fma_f64 v[36:37], v[16:17], s[8:9], v[18:19]
	v_add_f64 v[18:19], v[10:11], v[12:13]
	v_add_f64 v[24:25], v[24:25], v[28:29]
	v_fma_f64 v[32:33], v[16:17], s[8:9], v[32:33]
	v_add_f64 v[16:17], v[120:121], v[8:9]
	v_add_f64 v[28:29], v[10:11], -v[8:9]
	v_fma_f64 v[18:19], v[18:19], -0.5, v[120:121]
	v_add_f64 v[16:17], v[16:17], v[10:11]
	v_add_f64 v[10:11], v[10:11], -v[12:13]
	v_add_f64 v[28:29], v[28:29], v[38:39]
	v_fma_f64 v[20:21], v[22:23], s[16:17], v[18:19]
	v_fma_f64 v[18:19], v[22:23], s[18:19], v[18:19]
	v_add_f64 v[16:17], v[16:17], v[12:13]
	v_fma_f64 v[20:21], v[26:27], s[10:11], v[20:21]
	v_fma_f64 v[18:19], v[26:27], s[20:21], v[18:19]
	;; [unrolled: 3-line block ×3, first 2 shown]
	v_add_f64 v[18:19], v[8:9], v[14:15]
	v_add_f64 v[8:9], v[8:9], -v[14:15]
	v_fma_f64 v[18:19], v[18:19], -0.5, v[120:121]
	v_fma_f64 v[24:25], v[26:27], s[18:19], v[18:19]
	v_fma_f64 v[18:19], v[26:27], s[16:17], v[18:19]
	;; [unrolled: 1-line block ×4, first 2 shown]
	v_add_f64 v[22:23], v[2:3], v[4:5]
	v_fma_f64 v[24:25], v[28:29], s[8:9], v[24:25]
	v_fma_f64 v[38:39], v[28:29], s[8:9], v[18:19]
	v_fma_f64 v[26:27], v[22:23], -0.5, v[122:123]
	v_add_f64 v[22:23], v[6:7], -v[4:5]
	v_add_f64 v[18:19], v[122:123], v[0:1]
	v_fma_f64 v[14:15], v[8:9], s[18:19], v[26:27]
	v_add_f64 v[18:19], v[18:19], v[2:3]
	v_fma_f64 v[12:13], v[10:11], s[20:21], v[14:15]
	v_add_f64 v[14:15], v[0:1], -v[2:3]
	v_add_f64 v[18:19], v[18:19], v[4:5]
	v_add_f64 v[14:15], v[14:15], v[22:23]
	;; [unrolled: 1-line block ×3, first 2 shown]
	v_fma_f64 v[22:23], v[14:15], s[8:9], v[12:13]
	v_fma_f64 v[12:13], v[8:9], s[16:17], v[26:27]
	;; [unrolled: 1-line block ×4, first 2 shown]
	v_add_f64 v[12:13], v[0:1], v[6:7]
	v_add_f64 v[0:1], v[2:3], -v[0:1]
	v_add_f64 v[2:3], v[4:5], -v[6:7]
	v_fma_f64 v[12:13], v[12:13], -0.5, v[122:123]
	v_add_f64 v[0:1], v[0:1], v[2:3]
	v_fma_f64 v[14:15], v[10:11], s[16:17], v[12:13]
	v_fma_f64 v[2:3], v[10:11], s[18:19], v[12:13]
	;; [unrolled: 1-line block ×6, first 2 shown]
	buffer_load_dword v0, off, s[64:67], 0 offset:268 ; 4-byte Folded Reload
	s_waitcnt vmcnt(0)
	ds_write_b128 v0, v[76:79]
	ds_write_b128 v0, v[84:87] offset:816
	ds_write_b128 v0, v[92:95] offset:1632
	ds_write_b128 v0, v[88:91] offset:2448
	ds_write_b128 v0, v[80:83] offset:3264
	ds_write_b128 v135, v[96:99]
	ds_write_b128 v135, v[104:107] offset:816
	ds_write_b128 v135, v[30:33] offset:1632
	ds_write_b128 v135, v[34:37] offset:2448
	ds_write_b128 v135, v[100:103] offset:3264
	;; [unrolled: 5-line block ×3, first 2 shown]
	s_waitcnt lgkmcnt(0)
	s_barrier
	ds_read_b128 v[84:87], v134
	ds_read_b128 v[128:131], v134 offset:4080
	ds_read_b128 v[124:127], v134 offset:8160
	;; [unrolled: 1-line block ×13, first 2 shown]
	s_and_saveexec_b64 s[8:9], s[2:3]
	s_cbranch_execz .LBB0_19
; %bb.18:
	ds_read_b128 v[72:75], v134 offset:3808
	ds_read_b128 v[180:183], v134 offset:7888
	ds_read_b128 v[176:179], v134 offset:11968
	ds_read_b128 v[0:3], v134 offset:16048
	s_waitcnt lgkmcnt(0)
	buffer_store_dword v0, off, s[64:67], 0 offset:12 ; 4-byte Folded Spill
	s_nop 0
	buffer_store_dword v1, off, s[64:67], 0 offset:16 ; 4-byte Folded Spill
	buffer_store_dword v2, off, s[64:67], 0 offset:20 ; 4-byte Folded Spill
	buffer_store_dword v3, off, s[64:67], 0 offset:24 ; 4-byte Folded Spill
	ds_read_b128 v[0:3], v134 offset:20128
	s_waitcnt lgkmcnt(0)
	buffer_store_dword v0, off, s[64:67], 0 offset:28 ; 4-byte Folded Spill
	s_nop 0
	buffer_store_dword v1, off, s[64:67], 0 offset:32 ; 4-byte Folded Spill
	buffer_store_dword v2, off, s[64:67], 0 offset:36 ; 4-byte Folded Spill
	buffer_store_dword v3, off, s[64:67], 0 offset:40 ; 4-byte Folded Spill
	ds_read_b128 v[0:3], v134 offset:24208
	;; [unrolled: 7-line block ×3, first 2 shown]
	s_waitcnt lgkmcnt(0)
	buffer_store_dword v0, off, s[64:67], 0 offset:60 ; 4-byte Folded Spill
	s_nop 0
	buffer_store_dword v1, off, s[64:67], 0 offset:64 ; 4-byte Folded Spill
	buffer_store_dword v2, off, s[64:67], 0 offset:68 ; 4-byte Folded Spill
	;; [unrolled: 1-line block ×3, first 2 shown]
.LBB0_19:
	s_or_b64 exec, exec, s[8:9]
	buffer_load_dword v20, off, s[64:67], 0 offset:156 ; 4-byte Folded Reload
	buffer_load_dword v21, off, s[64:67], 0 offset:160 ; 4-byte Folded Reload
	;; [unrolled: 1-line block ×20, first 2 shown]
	s_mov_b32 s18, 0x37e14327
	s_mov_b32 s10, 0x36b3c0b5
	;; [unrolled: 1-line block ×20, first 2 shown]
	s_waitcnt vmcnt(16) lgkmcnt(12)
	v_mul_f64 v[0:1], v[22:23], v[130:131]
	s_waitcnt vmcnt(12) lgkmcnt(11)
	v_mul_f64 v[4:5], v[18:19], v[126:127]
	;; [unrolled: 2-line block ×3, first 2 shown]
	v_mul_f64 v[10:11], v[14:15], v[120:121]
	v_mul_f64 v[6:7], v[18:19], v[124:125]
	s_waitcnt vmcnt(4) lgkmcnt(9)
	v_mul_f64 v[14:15], v[30:31], v[112:113]
	s_waitcnt vmcnt(0) lgkmcnt(8)
	v_mul_f64 v[18:19], v[36:37], v[108:109]
	v_mul_f64 v[2:3], v[22:23], v[128:129]
	v_fma_f64 v[0:1], v[20:21], v[128:129], v[0:1]
	v_fma_f64 v[4:5], v[16:17], v[124:125], v[4:5]
	;; [unrolled: 1-line block ×3, first 2 shown]
	v_fma_f64 v[10:11], v[12:13], v[122:123], -v[10:11]
	v_mul_f64 v[12:13], v[30:31], v[114:115]
	buffer_load_dword v30, off, s[64:67], 0 offset:204 ; 4-byte Folded Reload
	buffer_load_dword v31, off, s[64:67], 0 offset:208 ; 4-byte Folded Reload
	;; [unrolled: 1-line block ×4, first 2 shown]
	v_fma_f64 v[6:7], v[16:17], v[126:127], -v[6:7]
	v_mul_f64 v[16:17], v[36:37], v[110:111]
	buffer_load_dword v36, off, s[64:67], 0 offset:252 ; 4-byte Folded Reload
	buffer_load_dword v37, off, s[64:67], 0 offset:256 ; 4-byte Folded Reload
	;; [unrolled: 1-line block ×12, first 2 shown]
	v_fma_f64 v[2:3], v[20:21], v[130:131], -v[2:3]
	v_fma_f64 v[12:13], v[28:29], v[112:113], v[12:13]
	v_fma_f64 v[14:15], v[28:29], v[114:115], -v[14:15]
	buffer_load_dword v44, off, s[64:67], 0 offset:140 ; 4-byte Folded Reload
	buffer_load_dword v45, off, s[64:67], 0 offset:144 ; 4-byte Folded Reload
	;; [unrolled: 1-line block ×4, first 2 shown]
	v_fma_f64 v[16:17], v[34:35], v[108:109], v[16:17]
	v_fma_f64 v[18:19], v[34:35], v[110:111], -v[18:19]
	s_waitcnt vmcnt(16) lgkmcnt(7)
	v_mul_f64 v[20:21], v[32:33], v[106:107]
	v_mul_f64 v[22:23], v[32:33], v[104:105]
	s_waitcnt vmcnt(12) lgkmcnt(5)
	v_mul_f64 v[24:25], v[38:39], v[118:119]
	s_waitcnt vmcnt(8) lgkmcnt(4)
	;; [unrolled: 2-line block ×3, first 2 shown]
	v_mul_f64 v[32:33], v[50:51], v[94:95]
	v_mul_f64 v[34:35], v[50:51], v[92:93]
	v_mul_f64 v[26:27], v[38:39], v[116:117]
	v_fma_f64 v[20:21], v[30:31], v[104:105], v[20:21]
	v_fma_f64 v[22:23], v[30:31], v[106:107], -v[22:23]
	v_mul_f64 v[30:31], v[54:55], v[88:89]
	buffer_load_dword v54, off, s[64:67], 0 offset:236 ; 4-byte Folded Reload
	buffer_load_dword v55, off, s[64:67], 0 offset:240 ; 4-byte Folded Reload
	buffer_load_dword v56, off, s[64:67], 0 offset:244 ; 4-byte Folded Reload
	buffer_load_dword v57, off, s[64:67], 0 offset:248 ; 4-byte Folded Reload
	buffer_load_dword v68, off, s[64:67], 0 offset:76 ; 4-byte Folded Reload
	buffer_load_dword v69, off, s[64:67], 0 offset:80 ; 4-byte Folded Reload
	buffer_load_dword v70, off, s[64:67], 0 offset:84 ; 4-byte Folded Reload
	buffer_load_dword v71, off, s[64:67], 0 offset:88 ; 4-byte Folded Reload
	v_fma_f64 v[32:33], v[48:49], v[92:93], v[32:33]
	v_fma_f64 v[34:35], v[48:49], v[94:95], -v[34:35]
	v_fma_f64 v[28:29], v[52:53], v[88:89], v[28:29]
	v_add_f64 v[48:49], v[0:1], v[20:21]
	v_add_f64 v[50:51], v[2:3], v[22:23]
	v_add_f64 v[0:1], v[0:1], -v[20:21]
	v_add_f64 v[2:3], v[2:3], -v[22:23]
	v_add_f64 v[20:21], v[4:5], v[16:17]
	v_add_f64 v[22:23], v[6:7], v[18:19]
	v_add_f64 v[4:5], v[4:5], -v[16:17]
	v_add_f64 v[6:7], v[6:7], -v[18:19]
	;; [unrolled: 4-line block ×3, first 2 shown]
	v_add_f64 v[12:13], v[20:21], v[48:49]
	v_add_f64 v[14:15], v[22:23], v[50:51]
	v_fma_f64 v[30:31], v[52:53], v[90:91], -v[30:31]
	v_add_f64 v[52:53], v[20:21], -v[48:49]
	v_add_f64 v[48:49], v[48:49], -v[16:17]
	;; [unrolled: 1-line block ×4, first 2 shown]
	v_add_f64 v[58:59], v[10:11], v[6:7]
	v_add_f64 v[62:63], v[10:11], -v[6:7]
	v_add_f64 v[12:13], v[16:17], v[12:13]
	v_add_f64 v[14:15], v[18:19], v[14:15]
	v_add_f64 v[6:7], v[6:7], -v[2:3]
	v_fma_f64 v[24:25], v[36:37], v[116:117], v[24:25]
	v_fma_f64 v[26:27], v[36:37], v[118:119], -v[26:27]
	s_waitcnt vmcnt(8) lgkmcnt(2)
	v_mul_f64 v[36:37], v[46:47], v[98:99]
	v_mul_f64 v[38:39], v[46:47], v[96:97]
	v_add_f64 v[10:11], v[2:3], -v[10:11]
	v_mul_f64 v[48:49], v[48:49], s[18:19]
	v_mul_f64 v[60:61], v[60:61], s[20:21]
	;; [unrolled: 1-line block ×4, first 2 shown]
	v_fma_f64 v[36:37], v[44:45], v[96:97], v[36:37]
	v_fma_f64 v[38:39], v[44:45], v[98:99], -v[38:39]
	v_fma_f64 v[6:7], v[6:7], s[8:9], -v[62:63]
	s_waitcnt vmcnt(4) lgkmcnt(1)
	v_mul_f64 v[40:41], v[56:57], v[102:103]
	v_mul_f64 v[42:43], v[56:57], v[100:101]
	v_add_f64 v[56:57], v[8:9], v[4:5]
	v_add_f64 v[4:5], v[4:5], -v[0:1]
	v_add_f64 v[8:9], v[0:1], -v[8:9]
	s_waitcnt vmcnt(0) lgkmcnt(0)
	v_mul_f64 v[44:45], v[70:71], v[82:83]
	v_mul_f64 v[46:47], v[70:71], v[80:81]
	v_fma_f64 v[40:41], v[54:55], v[100:101], v[40:41]
	v_fma_f64 v[42:43], v[54:55], v[102:103], -v[42:43]
	v_add_f64 v[54:55], v[22:23], -v[50:51]
	v_add_f64 v[50:51], v[50:51], -v[18:19]
	;; [unrolled: 1-line block ×3, first 2 shown]
	v_add_f64 v[16:17], v[56:57], v[0:1]
	v_add_f64 v[18:19], v[58:59], v[2:3]
	;; [unrolled: 1-line block ×4, first 2 shown]
	v_mul_f64 v[56:57], v[20:21], s[10:11]
	v_mul_f64 v[64:65], v[4:5], s[8:9]
	;; [unrolled: 1-line block ×4, first 2 shown]
	v_fma_f64 v[20:21], v[20:21], s[10:11], v[48:49]
	v_fma_f64 v[48:49], v[52:53], s[22:23], -v[48:49]
	v_fma_f64 v[12:13], v[12:13], s[28:29], v[0:1]
	v_fma_f64 v[14:15], v[14:15], s[28:29], v[2:3]
	v_fma_f64 v[56:57], v[52:53], s[16:17], -v[56:57]
	v_fma_f64 v[52:53], v[8:9], s[30:31], v[60:61]
	v_fma_f64 v[22:23], v[22:23], s[10:11], v[50:51]
	v_fma_f64 v[58:59], v[54:55], s[16:17], -v[58:59]
	v_fma_f64 v[50:51], v[54:55], s[22:23], -v[50:51]
	v_fma_f64 v[54:55], v[10:11], s[30:31], v[62:63]
	v_fma_f64 v[4:5], v[4:5], s[8:9], -v[60:61]
	v_fma_f64 v[8:9], v[8:9], s[26:27], -v[64:65]
	;; [unrolled: 1-line block ×3, first 2 shown]
	v_add_f64 v[60:61], v[20:21], v[12:13]
	v_add_f64 v[62:63], v[22:23], v[14:15]
	;; [unrolled: 1-line block ×6, first 2 shown]
	v_fma_f64 v[54:55], v[18:19], s[24:25], v[54:55]
	v_fma_f64 v[56:57], v[18:19], s[24:25], v[10:11]
	;; [unrolled: 1-line block ×6, first 2 shown]
	v_fma_f64 v[46:47], v[68:69], v[82:83], -v[46:47]
	v_fma_f64 v[52:53], v[16:17], s[24:25], v[52:53]
	v_add_f64 v[4:5], v[54:55], v[60:61]
	v_add_f64 v[8:9], v[56:57], v[48:49]
	v_add_f64 v[10:11], v[50:51], -v[58:59]
	v_add_f64 v[12:13], v[20:21], -v[18:19]
	v_add_f64 v[14:15], v[64:65], v[22:23]
	v_add_f64 v[16:17], v[18:19], v[20:21]
	v_add_f64 v[18:19], v[22:23], -v[64:65]
	v_add_f64 v[20:21], v[48:49], -v[56:57]
	v_add_f64 v[22:23], v[58:59], v[50:51]
	v_add_f64 v[48:49], v[24:25], v[44:45]
	;; [unrolled: 1-line block ×3, first 2 shown]
	v_add_f64 v[24:25], v[24:25], -v[44:45]
	v_add_f64 v[26:27], v[26:27], -v[46:47]
	v_add_f64 v[44:45], v[28:29], v[40:41]
	v_add_f64 v[46:47], v[30:31], v[42:43]
	v_add_f64 v[28:29], v[28:29], -v[40:41]
	v_add_f64 v[30:31], v[30:31], -v[42:43]
	v_add_f64 v[40:41], v[32:33], v[36:37]
	v_add_f64 v[42:43], v[34:35], v[38:39]
	;; [unrolled: 4-line block ×3, first 2 shown]
	v_add_f64 v[56:57], v[44:45], -v[48:49]
	v_add_f64 v[58:59], v[46:47], -v[50:51]
	;; [unrolled: 1-line block ×6, first 2 shown]
	v_add_f64 v[64:65], v[32:33], v[28:29]
	v_add_f64 v[66:67], v[34:35], v[30:31]
	v_add_f64 v[68:69], v[32:33], -v[28:29]
	v_add_f64 v[36:37], v[40:41], v[36:37]
	v_add_f64 v[38:39], v[42:43], v[38:39]
	v_add_f64 v[28:29], v[28:29], -v[24:25]
	v_add_f64 v[70:71], v[34:35], -v[30:31]
	;; [unrolled: 1-line block ×5, first 2 shown]
	v_add_f64 v[40:41], v[64:65], v[24:25]
	v_add_f64 v[42:43], v[66:67], v[26:27]
	;; [unrolled: 1-line block ×4, first 2 shown]
	v_mul_f64 v[48:49], v[48:49], s[18:19]
	v_mul_f64 v[50:51], v[50:51], s[18:19]
	;; [unrolled: 1-line block ×8, first 2 shown]
	v_fma_f64 v[38:39], v[38:39], s[28:29], v[26:27]
	v_fma_f64 v[44:45], v[44:45], s[10:11], v[48:49]
	;; [unrolled: 1-line block ×3, first 2 shown]
	v_fma_f64 v[64:65], v[56:57], s[16:17], -v[64:65]
	v_fma_f64 v[66:67], v[58:59], s[16:17], -v[66:67]
	;; [unrolled: 1-line block ×4, first 2 shown]
	v_fma_f64 v[56:57], v[32:33], s[30:31], v[68:69]
	v_fma_f64 v[32:33], v[32:33], s[26:27], -v[76:77]
	v_fma_f64 v[36:37], v[36:37], s[28:29], v[24:25]
	v_fma_f64 v[58:59], v[34:35], s[30:31], v[70:71]
	v_fma_f64 v[28:29], v[28:29], s[8:9], -v[68:69]
	v_fma_f64 v[30:31], v[30:31], s[8:9], -v[70:71]
	;; [unrolled: 1-line block ×3, first 2 shown]
	v_add_f64 v[70:71], v[46:47], v[38:39]
	v_add_f64 v[46:47], v[66:67], v[38:39]
	;; [unrolled: 1-line block ×3, first 2 shown]
	v_fma_f64 v[66:67], v[40:41], s[24:25], v[32:33]
	v_add_f64 v[68:69], v[44:45], v[36:37]
	v_add_f64 v[44:45], v[64:65], v[36:37]
	;; [unrolled: 1-line block ×3, first 2 shown]
	v_fma_f64 v[58:59], v[42:43], s[24:25], v[58:59]
	v_fma_f64 v[56:57], v[40:41], s[24:25], v[56:57]
	;; [unrolled: 1-line block ×5, first 2 shown]
	v_add_f64 v[38:39], v[50:51], -v[66:67]
	v_add_f64 v[50:51], v[66:67], v[50:51]
	v_add_f64 v[6:7], v[62:63], -v[52:53]
	v_add_f64 v[28:29], v[60:61], -v[54:55]
	v_add_f64 v[30:31], v[52:53], v[62:63]
	v_add_f64 v[32:33], v[58:59], v[68:69]
	v_add_f64 v[34:35], v[70:71], -v[56:57]
	v_add_f64 v[36:37], v[64:65], v[48:49]
	v_add_f64 v[40:41], v[44:45], -v[76:77]
	v_add_f64 v[42:43], v[78:79], v[46:47]
	v_add_f64 v[44:45], v[76:77], v[44:45]
	v_add_f64 v[46:47], v[46:47], -v[78:79]
	v_add_f64 v[48:49], v[48:49], -v[64:65]
	;; [unrolled: 1-line block ×3, first 2 shown]
	v_add_f64 v[54:55], v[56:57], v[70:71]
	ds_write_b128 v134, v[0:3]
	ds_write_b128 v134, v[4:7] offset:4080
	ds_write_b128 v134, v[8:11] offset:8160
	;; [unrolled: 1-line block ×13, first 2 shown]
	s_mov_b64 s[34:35], exec
	buffer_load_dword v50, off, s[64:67], 0 offset:8 ; 4-byte Folded Reload
	s_and_b64 s[2:3], s[34:35], s[2:3]
	s_mov_b64 exec, s[2:3]
	s_cbranch_execz .LBB0_21
; %bb.20:
	buffer_load_dword v24, off, s[64:67], 0 offset:388 ; 4-byte Folded Reload
	buffer_load_dword v25, off, s[64:67], 0 offset:392 ; 4-byte Folded Reload
	;; [unrolled: 1-line block ×28, first 2 shown]
	s_waitcnt vmcnt(20)
	v_mul_f64 v[0:1], v[26:27], v[53:54]
	s_waitcnt vmcnt(12)
	v_mul_f64 v[2:3], v[30:31], v[48:49]
	;; [unrolled: 2-line block ×4, first 2 shown]
	v_mul_f64 v[8:9], v[42:43], v[59:60]
	buffer_load_dword v42, off, s[64:67], 0 offset:468 ; 4-byte Folded Reload
	buffer_load_dword v43, off, s[64:67], 0 offset:472 ; 4-byte Folded Reload
	;; [unrolled: 1-line block ×12, first 2 shown]
	v_mul_f64 v[4:5], v[38:39], v[182:183]
	v_fma_f64 v[0:1], v[24:25], v[51:52], v[0:1]
	v_fma_f64 v[2:3], v[28:29], v[46:47], v[2:3]
	v_fma_f64 v[10:11], v[36:37], v[182:183], -v[10:11]
	v_mul_f64 v[20:21], v[30:31], v[46:47]
	v_fma_f64 v[8:9], v[40:41], v[61:62], -v[8:9]
	v_mul_f64 v[22:23], v[26:27], v[51:52]
	v_fma_f64 v[6:7], v[40:41], v[59:60], v[6:7]
	v_fma_f64 v[4:5], v[36:37], v[180:181], v[4:5]
	v_fma_f64 v[20:21], v[28:29], v[48:49], -v[20:21]
	v_add_f64 v[28:29], v[0:1], -v[2:3]
	v_fma_f64 v[22:23], v[24:25], v[53:54], -v[22:23]
	v_add_f64 v[24:25], v[10:11], v[8:9]
	v_add_f64 v[36:37], v[4:5], -v[6:7]
	v_add_f64 v[4:5], v[4:5], v[6:7]
	v_add_f64 v[8:9], v[10:11], -v[8:9]
	s_waitcnt vmcnt(6)
	v_mul_f64 v[12:13], v[44:45], v[55:56]
	s_waitcnt vmcnt(0)
	v_mul_f64 v[14:15], v[34:35], v[176:177]
	v_mul_f64 v[16:17], v[34:35], v[178:179]
	;; [unrolled: 1-line block ×3, first 2 shown]
	v_fma_f64 v[12:13], v[42:43], v[57:58], -v[12:13]
	v_fma_f64 v[14:15], v[32:33], v[178:179], -v[14:15]
	v_fma_f64 v[16:17], v[32:33], v[176:177], v[16:17]
	v_fma_f64 v[18:19], v[42:43], v[55:56], v[18:19]
	v_add_f64 v[32:33], v[20:21], v[22:23]
	v_add_f64 v[42:43], v[2:3], v[0:1]
	v_add_f64 v[20:21], v[22:23], -v[20:21]
	v_add_f64 v[26:27], v[14:15], v[12:13]
	v_add_f64 v[12:13], v[14:15], -v[12:13]
	v_add_f64 v[30:31], v[16:17], -v[18:19]
	v_add_f64 v[16:17], v[16:17], v[18:19]
	v_add_f64 v[6:7], v[24:25], -v[32:33]
	;; [unrolled: 3-line block ×3, first 2 shown]
	v_add_f64 v[38:39], v[28:29], -v[30:31]
	v_add_f64 v[40:41], v[16:17], v[4:5]
	v_mul_f64 v[44:45], v[6:7], s[18:19]
	v_add_f64 v[6:7], v[32:33], -v[26:27]
	v_add_f64 v[14:15], v[30:31], -v[36:37]
	;; [unrolled: 1-line block ×3, first 2 shown]
	v_add_f64 v[18:19], v[32:33], v[34:35]
	v_add_f64 v[34:35], v[36:37], -v[28:29]
	v_mul_f64 v[38:39], v[38:39], s[20:21]
	v_add_f64 v[28:29], v[28:29], v[30:31]
	v_add_f64 v[32:33], v[42:43], v[40:41]
	v_fma_f64 v[46:47], v[6:7], s[10:11], v[44:45]
	v_add_f64 v[24:25], v[26:27], -v[24:25]
	v_mul_f64 v[26:27], v[6:7], s[10:11]
	v_add_f64 v[2:3], v[74:75], v[18:19]
	v_mul_f64 v[10:11], v[10:11], s[18:19]
	v_fma_f64 v[40:41], v[34:35], s[30:31], v[38:39]
	v_add_f64 v[28:29], v[28:29], v[36:37]
	v_add_f64 v[0:1], v[72:73], v[32:33]
	v_mul_f64 v[42:43], v[14:15], s[8:9]
	v_add_f64 v[4:5], v[16:17], -v[4:5]
	v_mul_f64 v[16:17], v[48:49], s[8:9]
	v_fma_f64 v[18:19], v[18:19], s[28:29], v[2:3]
	v_fma_f64 v[14:15], v[14:15], s[8:9], -v[38:39]
	v_fma_f64 v[30:31], v[28:29], s[24:25], v[40:41]
	v_add_f64 v[40:41], v[20:21], -v[12:13]
	v_add_f64 v[12:13], v[20:21], v[12:13]
	v_fma_f64 v[32:33], v[32:33], s[28:29], v[0:1]
	v_fma_f64 v[34:35], v[34:35], s[26:27], -v[42:43]
	v_add_f64 v[36:37], v[46:47], v[18:19]
	v_add_f64 v[46:47], v[8:9], -v[20:21]
	v_mul_f64 v[20:21], v[22:23], s[10:11]
	v_fma_f64 v[22:23], v[22:23], s[10:11], v[10:11]
	v_mul_f64 v[40:41], v[40:41], s[20:21]
	v_fma_f64 v[42:43], v[24:25], s[22:23], -v[44:45]
	v_add_f64 v[8:9], v[12:13], v[8:9]
	v_fma_f64 v[12:13], v[24:25], s[16:17], -v[26:27]
	v_fma_f64 v[10:11], v[4:5], s[22:23], -v[10:11]
	;; [unrolled: 1-line block ×4, first 2 shown]
	v_fma_f64 v[24:25], v[28:29], s[24:25], v[34:35]
	v_fma_f64 v[44:45], v[46:47], s[30:31], v[40:41]
	v_fma_f64 v[20:21], v[48:49], s[8:9], -v[40:41]
	v_add_f64 v[26:27], v[42:43], v[18:19]
	v_add_f64 v[12:13], v[12:13], v[18:19]
	v_fma_f64 v[18:19], v[28:29], s[24:25], v[14:15]
	v_add_f64 v[28:29], v[22:23], v[32:33]
	v_add_f64 v[38:39], v[10:11], v[32:33]
	v_fma_f64 v[40:41], v[8:9], s[24:25], v[16:17]
	v_fma_f64 v[34:35], v[8:9], s[24:25], v[44:45]
	v_add_f64 v[4:5], v[4:5], v[32:33]
	v_fma_f64 v[8:9], v[8:9], s[24:25], v[20:21]
	v_add_f64 v[10:11], v[24:25], v[26:27]
	v_add_f64 v[22:23], v[26:27], -v[24:25]
	v_add_f64 v[26:27], v[36:37], -v[30:31]
	;; [unrolled: 1-line block ×3, first 2 shown]
	v_add_f64 v[20:21], v[40:41], v[38:39]
	v_add_f64 v[24:25], v[34:35], v[28:29]
	;; [unrolled: 1-line block ×3, first 2 shown]
	v_add_f64 v[16:17], v[4:5], -v[8:9]
	v_add_f64 v[12:13], v[8:9], v[4:5]
	v_add_f64 v[8:9], v[38:39], -v[40:41]
	v_add_f64 v[6:7], v[30:31], v[36:37]
	v_add_f64 v[4:5], v[28:29], -v[34:35]
	ds_write_b128 v134, v[0:3] offset:3808
	ds_write_b128 v134, v[24:27] offset:7888
	;; [unrolled: 1-line block ×7, first 2 shown]
.LBB0_21:
	s_or_b64 exec, exec, s[34:35]
	s_waitcnt vmcnt(0) lgkmcnt(0)
	s_barrier
	s_and_b64 exec, exec, s[0:1]
	s_cbranch_execz .LBB0_23
; %bb.22:
	global_load_dwordx4 v[0:3], v132, s[12:13]
	buffer_load_dword v22, off, s[64:67], 0 ; 4-byte Folded Reload
	buffer_load_dword v23, off, s[64:67], 0 offset:4 ; 4-byte Folded Reload
	ds_read_b128 v[4:7], v134
	v_mad_u64_u32 v[14:15], s[0:1], s4, v50, 0
	ds_read_b128 v[8:11], v132 offset:1680
	ds_read_b128 v[16:19], v132 offset:26880
	s_mul_i32 s3, s5, 0x690
	s_mul_i32 s2, s4, 0x690
	s_waitcnt vmcnt(2) lgkmcnt(2)
	v_mul_f64 v[20:21], v[6:7], v[2:3]
	v_mul_f64 v[2:3], v[4:5], v[2:3]
	s_waitcnt vmcnt(1)
	v_mad_u64_u32 v[12:13], s[0:1], s6, v22, 0
	s_waitcnt vmcnt(0)
	v_mad_u64_u32 v[22:23], s[0:1], s7, v22, v[13:14]
	v_fma_f64 v[4:5], v[4:5], v[0:1], v[20:21]
	v_fma_f64 v[2:3], v[0:1], v[6:7], -v[2:3]
	s_waitcnt lgkmcnt(0)
	v_mad_u64_u32 v[23:24], s[0:1], s5, v50, v[15:16]
	s_mov_b32 s0, 0x125b8012
	s_mov_b32 s1, 0x3f425b80
	v_mov_b32_e32 v13, v22
	v_lshlrev_b64 v[6:7], 4, v[12:13]
	v_mul_f64 v[0:1], v[4:5], s[0:1]
	v_mul_f64 v[2:3], v[2:3], s[0:1]
	v_mov_b32_e32 v15, v23
	v_mov_b32_e32 v20, s15
	v_lshlrev_b64 v[12:13], 4, v[14:15]
	v_add_co_u32_e32 v4, vcc, s14, v6
	v_addc_co_u32_e32 v5, vcc, v20, v7, vcc
	v_add_co_u32_e32 v4, vcc, v4, v12
	v_addc_co_u32_e32 v5, vcc, v5, v13, vcc
	global_store_dwordx4 v[4:5], v[0:3], off
	global_load_dwordx4 v[0:3], v132, s[12:13] offset:1680
	s_mul_hi_u32 s5, s4, 0x690
	s_add_i32 s3, s5, s3
	v_add_co_u32_e32 v12, vcc, s2, v4
	v_mov_b32_e32 v20, s13
	s_movk_i32 s4, 0x1000
	s_waitcnt vmcnt(0)
	v_mul_f64 v[6:7], v[10:11], v[2:3]
	v_mul_f64 v[2:3], v[8:9], v[2:3]
	v_fma_f64 v[6:7], v[8:9], v[0:1], v[6:7]
	v_fma_f64 v[2:3], v[0:1], v[10:11], -v[2:3]
	v_mul_f64 v[0:1], v[6:7], s[0:1]
	v_mul_f64 v[2:3], v[2:3], s[0:1]
	v_mov_b32_e32 v6, s3
	v_addc_co_u32_e32 v13, vcc, v5, v6, vcc
	v_add_co_u32_e32 v22, vcc, s12, v132
	v_addc_co_u32_e32 v23, vcc, 0, v20, vcc
	global_store_dwordx4 v[12:13], v[0:3], off
	global_load_dwordx4 v[0:3], v132, s[12:13] offset:3360
	ds_read_b128 v[4:7], v132 offset:3360
	ds_read_b128 v[8:11], v132 offset:5040
	s_waitcnt vmcnt(0) lgkmcnt(1)
	v_mul_f64 v[14:15], v[6:7], v[2:3]
	v_mul_f64 v[2:3], v[4:5], v[2:3]
	v_fma_f64 v[4:5], v[4:5], v[0:1], v[14:15]
	v_fma_f64 v[2:3], v[0:1], v[6:7], -v[2:3]
	v_mov_b32_e32 v7, s3
	v_mul_f64 v[0:1], v[4:5], s[0:1]
	v_mul_f64 v[2:3], v[2:3], s[0:1]
	v_add_co_u32_e32 v4, vcc, s4, v22
	v_addc_co_u32_e32 v5, vcc, 0, v23, vcc
	v_add_co_u32_e32 v6, vcc, s2, v12
	v_addc_co_u32_e32 v7, vcc, v13, v7, vcc
	global_store_dwordx4 v[6:7], v[0:3], off
	global_load_dwordx4 v[0:3], v[4:5], off offset:944
	s_movk_i32 s4, 0x2000
	s_waitcnt vmcnt(0) lgkmcnt(0)
	v_mul_f64 v[12:13], v[10:11], v[2:3]
	v_mul_f64 v[2:3], v[8:9], v[2:3]
	v_fma_f64 v[8:9], v[8:9], v[0:1], v[12:13]
	v_fma_f64 v[2:3], v[0:1], v[10:11], -v[2:3]
	v_add_co_u32_e32 v12, vcc, s2, v6
	v_mul_f64 v[0:1], v[8:9], s[0:1]
	v_mul_f64 v[2:3], v[2:3], s[0:1]
	v_mov_b32_e32 v8, s3
	v_addc_co_u32_e32 v13, vcc, v7, v8, vcc
	global_store_dwordx4 v[12:13], v[0:3], off
	global_load_dwordx4 v[0:3], v[4:5], off offset:2624
	ds_read_b128 v[4:7], v132 offset:6720
	ds_read_b128 v[8:11], v132 offset:8400
	s_waitcnt vmcnt(0) lgkmcnt(1)
	v_mul_f64 v[14:15], v[6:7], v[2:3]
	v_mul_f64 v[2:3], v[4:5], v[2:3]
	v_fma_f64 v[4:5], v[4:5], v[0:1], v[14:15]
	v_fma_f64 v[2:3], v[0:1], v[6:7], -v[2:3]
	v_add_co_u32_e32 v14, vcc, s4, v22
	v_addc_co_u32_e32 v15, vcc, 0, v23, vcc
	v_mov_b32_e32 v6, s3
	s_movk_i32 s4, 0x3000
	v_mul_f64 v[0:1], v[4:5], s[0:1]
	v_mul_f64 v[2:3], v[2:3], s[0:1]
	v_add_co_u32_e32 v4, vcc, s2, v12
	v_addc_co_u32_e32 v5, vcc, v13, v6, vcc
	v_add_co_u32_e32 v12, vcc, s2, v4
	global_store_dwordx4 v[4:5], v[0:3], off
	global_load_dwordx4 v[0:3], v[14:15], off offset:208
	s_waitcnt vmcnt(0) lgkmcnt(0)
	v_mul_f64 v[6:7], v[10:11], v[2:3]
	v_mul_f64 v[2:3], v[8:9], v[2:3]
	v_fma_f64 v[6:7], v[8:9], v[0:1], v[6:7]
	v_fma_f64 v[2:3], v[0:1], v[10:11], -v[2:3]
	v_mul_f64 v[0:1], v[6:7], s[0:1]
	v_mul_f64 v[2:3], v[2:3], s[0:1]
	v_mov_b32_e32 v6, s3
	v_addc_co_u32_e32 v13, vcc, v5, v6, vcc
	global_store_dwordx4 v[12:13], v[0:3], off
	global_load_dwordx4 v[0:3], v[14:15], off offset:1888
	ds_read_b128 v[4:7], v132 offset:10080
	ds_read_b128 v[8:11], v132 offset:11760
	s_waitcnt vmcnt(0) lgkmcnt(1)
	v_mul_f64 v[20:21], v[6:7], v[2:3]
	v_mul_f64 v[2:3], v[4:5], v[2:3]
	v_fma_f64 v[4:5], v[4:5], v[0:1], v[20:21]
	v_fma_f64 v[2:3], v[0:1], v[6:7], -v[2:3]
	v_mul_f64 v[0:1], v[4:5], s[0:1]
	v_mul_f64 v[2:3], v[2:3], s[0:1]
	v_mov_b32_e32 v5, s3
	v_add_co_u32_e32 v4, vcc, s2, v12
	v_addc_co_u32_e32 v5, vcc, v13, v5, vcc
	v_add_co_u32_e32 v12, vcc, s4, v22
	global_store_dwordx4 v[4:5], v[0:3], off
	global_load_dwordx4 v[0:3], v[14:15], off offset:3568
	v_addc_co_u32_e32 v13, vcc, 0, v23, vcc
	v_add_co_u32_e32 v14, vcc, s2, v4
	s_movk_i32 s4, 0x4000
	s_waitcnt vmcnt(0) lgkmcnt(0)
	v_mul_f64 v[6:7], v[10:11], v[2:3]
	v_mul_f64 v[2:3], v[8:9], v[2:3]
	v_fma_f64 v[6:7], v[8:9], v[0:1], v[6:7]
	v_fma_f64 v[2:3], v[0:1], v[10:11], -v[2:3]
	v_mov_b32_e32 v8, s3
	v_addc_co_u32_e32 v15, vcc, v5, v8, vcc
	v_mul_f64 v[0:1], v[6:7], s[0:1]
	v_mul_f64 v[2:3], v[2:3], s[0:1]
	global_store_dwordx4 v[14:15], v[0:3], off
	global_load_dwordx4 v[0:3], v[12:13], off offset:1152
	ds_read_b128 v[4:7], v132 offset:13440
	ds_read_b128 v[8:11], v132 offset:15120
	s_waitcnt vmcnt(0) lgkmcnt(1)
	v_mul_f64 v[20:21], v[6:7], v[2:3]
	v_mul_f64 v[2:3], v[4:5], v[2:3]
	v_fma_f64 v[4:5], v[4:5], v[0:1], v[20:21]
	v_fma_f64 v[2:3], v[0:1], v[6:7], -v[2:3]
	v_mul_f64 v[0:1], v[4:5], s[0:1]
	v_mul_f64 v[2:3], v[2:3], s[0:1]
	v_mov_b32_e32 v5, s3
	v_add_co_u32_e32 v4, vcc, s2, v14
	v_addc_co_u32_e32 v5, vcc, v15, v5, vcc
	global_store_dwordx4 v[4:5], v[0:3], off
	global_load_dwordx4 v[0:3], v[12:13], off offset:2832
	v_add_co_u32_e32 v12, vcc, s4, v22
	v_addc_co_u32_e32 v13, vcc, 0, v23, vcc
	v_add_co_u32_e32 v14, vcc, s2, v4
	s_movk_i32 s4, 0x5000
	s_waitcnt vmcnt(0) lgkmcnt(0)
	v_mul_f64 v[6:7], v[10:11], v[2:3]
	v_mul_f64 v[2:3], v[8:9], v[2:3]
	v_fma_f64 v[6:7], v[8:9], v[0:1], v[6:7]
	v_fma_f64 v[2:3], v[0:1], v[10:11], -v[2:3]
	v_mov_b32_e32 v8, s3
	v_addc_co_u32_e32 v15, vcc, v5, v8, vcc
	v_mul_f64 v[0:1], v[6:7], s[0:1]
	v_mul_f64 v[2:3], v[2:3], s[0:1]
	global_store_dwordx4 v[14:15], v[0:3], off
	global_load_dwordx4 v[0:3], v[12:13], off offset:416
	ds_read_b128 v[4:7], v132 offset:16800
	ds_read_b128 v[8:11], v132 offset:18480
	s_waitcnt vmcnt(0) lgkmcnt(1)
	v_mul_f64 v[20:21], v[6:7], v[2:3]
	v_mul_f64 v[2:3], v[4:5], v[2:3]
	v_fma_f64 v[4:5], v[4:5], v[0:1], v[20:21]
	v_fma_f64 v[2:3], v[0:1], v[6:7], -v[2:3]
	v_mul_f64 v[0:1], v[4:5], s[0:1]
	v_mul_f64 v[2:3], v[2:3], s[0:1]
	v_mov_b32_e32 v5, s3
	v_add_co_u32_e32 v4, vcc, s2, v14
	v_addc_co_u32_e32 v5, vcc, v15, v5, vcc
	v_add_co_u32_e32 v14, vcc, s2, v4
	global_store_dwordx4 v[4:5], v[0:3], off
	global_load_dwordx4 v[0:3], v[12:13], off offset:2096
	s_waitcnt vmcnt(0) lgkmcnt(0)
	v_mul_f64 v[6:7], v[10:11], v[2:3]
	v_mul_f64 v[2:3], v[8:9], v[2:3]
	v_fma_f64 v[6:7], v[8:9], v[0:1], v[6:7]
	v_fma_f64 v[2:3], v[0:1], v[10:11], -v[2:3]
	v_mul_f64 v[0:1], v[6:7], s[0:1]
	v_mul_f64 v[2:3], v[2:3], s[0:1]
	v_mov_b32_e32 v6, s3
	v_addc_co_u32_e32 v15, vcc, v5, v6, vcc
	global_store_dwordx4 v[14:15], v[0:3], off
	global_load_dwordx4 v[0:3], v[12:13], off offset:3776
	ds_read_b128 v[4:7], v132 offset:20160
	ds_read_b128 v[8:11], v132 offset:21840
	s_waitcnt vmcnt(0) lgkmcnt(1)
	v_mul_f64 v[12:13], v[6:7], v[2:3]
	v_mul_f64 v[2:3], v[4:5], v[2:3]
	v_fma_f64 v[4:5], v[4:5], v[0:1], v[12:13]
	v_fma_f64 v[2:3], v[0:1], v[6:7], -v[2:3]
	v_mov_b32_e32 v7, s3
	v_mul_f64 v[0:1], v[4:5], s[0:1]
	v_mul_f64 v[2:3], v[2:3], s[0:1]
	v_add_co_u32_e32 v4, vcc, s4, v22
	v_addc_co_u32_e32 v5, vcc, 0, v23, vcc
	v_add_co_u32_e32 v6, vcc, s2, v14
	v_addc_co_u32_e32 v7, vcc, v15, v7, vcc
	global_store_dwordx4 v[6:7], v[0:3], off
	global_load_dwordx4 v[0:3], v[4:5], off offset:1360
	s_movk_i32 s4, 0x6000
	s_waitcnt vmcnt(0) lgkmcnt(0)
	v_mul_f64 v[12:13], v[10:11], v[2:3]
	v_mul_f64 v[2:3], v[8:9], v[2:3]
	v_fma_f64 v[8:9], v[8:9], v[0:1], v[12:13]
	v_fma_f64 v[2:3], v[0:1], v[10:11], -v[2:3]
	v_add_co_u32_e32 v12, vcc, s2, v6
	v_mul_f64 v[0:1], v[8:9], s[0:1]
	v_mul_f64 v[2:3], v[2:3], s[0:1]
	v_mov_b32_e32 v8, s3
	v_addc_co_u32_e32 v13, vcc, v7, v8, vcc
	global_store_dwordx4 v[12:13], v[0:3], off
	global_load_dwordx4 v[0:3], v[4:5], off offset:3040
	ds_read_b128 v[4:7], v132 offset:23520
	ds_read_b128 v[8:11], v132 offset:25200
	s_waitcnt vmcnt(0) lgkmcnt(1)
	v_mul_f64 v[14:15], v[6:7], v[2:3]
	v_mul_f64 v[2:3], v[4:5], v[2:3]
	v_fma_f64 v[4:5], v[4:5], v[0:1], v[14:15]
	v_fma_f64 v[2:3], v[0:1], v[6:7], -v[2:3]
	v_mov_b32_e32 v7, s3
	v_mul_f64 v[0:1], v[4:5], s[0:1]
	v_mul_f64 v[2:3], v[2:3], s[0:1]
	v_add_co_u32_e32 v4, vcc, s4, v22
	v_addc_co_u32_e32 v5, vcc, 0, v23, vcc
	v_add_co_u32_e32 v6, vcc, s2, v12
	v_addc_co_u32_e32 v7, vcc, v13, v7, vcc
	global_store_dwordx4 v[6:7], v[0:3], off
	global_load_dwordx4 v[0:3], v[4:5], off offset:624
	v_add_co_u32_e32 v6, vcc, s2, v6
	s_waitcnt vmcnt(0) lgkmcnt(0)
	v_mul_f64 v[12:13], v[10:11], v[2:3]
	v_mul_f64 v[2:3], v[8:9], v[2:3]
	v_fma_f64 v[8:9], v[8:9], v[0:1], v[12:13]
	v_fma_f64 v[2:3], v[0:1], v[10:11], -v[2:3]
	v_mul_f64 v[0:1], v[8:9], s[0:1]
	v_mul_f64 v[2:3], v[2:3], s[0:1]
	v_mov_b32_e32 v8, s3
	v_addc_co_u32_e32 v7, vcc, v7, v8, vcc
	global_store_dwordx4 v[6:7], v[0:3], off
	global_load_dwordx4 v[0:3], v[4:5], off offset:2304
	s_waitcnt vmcnt(0)
	v_mul_f64 v[4:5], v[18:19], v[2:3]
	v_mul_f64 v[2:3], v[16:17], v[2:3]
	v_fma_f64 v[4:5], v[16:17], v[0:1], v[4:5]
	v_fma_f64 v[2:3], v[0:1], v[18:19], -v[2:3]
	v_mul_f64 v[0:1], v[4:5], s[0:1]
	v_mul_f64 v[2:3], v[2:3], s[0:1]
	v_mov_b32_e32 v5, s3
	v_add_co_u32_e32 v4, vcc, s2, v6
	v_addc_co_u32_e32 v5, vcc, v7, v5, vcc
	global_store_dwordx4 v[4:5], v[0:3], off
.LBB0_23:
	s_endpgm
	.section	.rodata,"a",@progbits
	.p2align	6, 0x0
	.amdhsa_kernel bluestein_single_fwd_len1785_dim1_dp_op_CI_CI
		.amdhsa_group_segment_fixed_size 28560
		.amdhsa_private_segment_fixed_size 872
		.amdhsa_kernarg_size 104
		.amdhsa_user_sgpr_count 6
		.amdhsa_user_sgpr_private_segment_buffer 1
		.amdhsa_user_sgpr_dispatch_ptr 0
		.amdhsa_user_sgpr_queue_ptr 0
		.amdhsa_user_sgpr_kernarg_segment_ptr 1
		.amdhsa_user_sgpr_dispatch_id 0
		.amdhsa_user_sgpr_flat_scratch_init 0
		.amdhsa_user_sgpr_private_segment_size 0
		.amdhsa_uses_dynamic_stack 0
		.amdhsa_system_sgpr_private_segment_wavefront_offset 1
		.amdhsa_system_sgpr_workgroup_id_x 1
		.amdhsa_system_sgpr_workgroup_id_y 0
		.amdhsa_system_sgpr_workgroup_id_z 0
		.amdhsa_system_sgpr_workgroup_info 0
		.amdhsa_system_vgpr_workitem_id 0
		.amdhsa_next_free_vgpr 256
		.amdhsa_next_free_sgpr 68
		.amdhsa_reserve_vcc 1
		.amdhsa_reserve_flat_scratch 0
		.amdhsa_float_round_mode_32 0
		.amdhsa_float_round_mode_16_64 0
		.amdhsa_float_denorm_mode_32 3
		.amdhsa_float_denorm_mode_16_64 3
		.amdhsa_dx10_clamp 1
		.amdhsa_ieee_mode 1
		.amdhsa_fp16_overflow 0
		.amdhsa_exception_fp_ieee_invalid_op 0
		.amdhsa_exception_fp_denorm_src 0
		.amdhsa_exception_fp_ieee_div_zero 0
		.amdhsa_exception_fp_ieee_overflow 0
		.amdhsa_exception_fp_ieee_underflow 0
		.amdhsa_exception_fp_ieee_inexact 0
		.amdhsa_exception_int_div_zero 0
	.end_amdhsa_kernel
	.text
.Lfunc_end0:
	.size	bluestein_single_fwd_len1785_dim1_dp_op_CI_CI, .Lfunc_end0-bluestein_single_fwd_len1785_dim1_dp_op_CI_CI
                                        ; -- End function
	.section	.AMDGPU.csdata,"",@progbits
; Kernel info:
; codeLenInByte = 35872
; NumSgprs: 72
; NumVgprs: 256
; ScratchSize: 872
; MemoryBound: 0
; FloatMode: 240
; IeeeMode: 1
; LDSByteSize: 28560 bytes/workgroup (compile time only)
; SGPRBlocks: 8
; VGPRBlocks: 63
; NumSGPRsForWavesPerEU: 72
; NumVGPRsForWavesPerEU: 256
; Occupancy: 1
; WaveLimiterHint : 1
; COMPUTE_PGM_RSRC2:SCRATCH_EN: 1
; COMPUTE_PGM_RSRC2:USER_SGPR: 6
; COMPUTE_PGM_RSRC2:TRAP_HANDLER: 0
; COMPUTE_PGM_RSRC2:TGID_X_EN: 1
; COMPUTE_PGM_RSRC2:TGID_Y_EN: 0
; COMPUTE_PGM_RSRC2:TGID_Z_EN: 0
; COMPUTE_PGM_RSRC2:TIDIG_COMP_CNT: 0
	.type	__hip_cuid_3f0d79b2eaed8b11,@object ; @__hip_cuid_3f0d79b2eaed8b11
	.section	.bss,"aw",@nobits
	.globl	__hip_cuid_3f0d79b2eaed8b11
__hip_cuid_3f0d79b2eaed8b11:
	.byte	0                               ; 0x0
	.size	__hip_cuid_3f0d79b2eaed8b11, 1

	.ident	"AMD clang version 19.0.0git (https://github.com/RadeonOpenCompute/llvm-project roc-6.4.0 25133 c7fe45cf4b819c5991fe208aaa96edf142730f1d)"
	.section	".note.GNU-stack","",@progbits
	.addrsig
	.addrsig_sym __hip_cuid_3f0d79b2eaed8b11
	.amdgpu_metadata
---
amdhsa.kernels:
  - .args:
      - .actual_access:  read_only
        .address_space:  global
        .offset:         0
        .size:           8
        .value_kind:     global_buffer
      - .actual_access:  read_only
        .address_space:  global
        .offset:         8
        .size:           8
        .value_kind:     global_buffer
      - .actual_access:  read_only
        .address_space:  global
        .offset:         16
        .size:           8
        .value_kind:     global_buffer
      - .actual_access:  read_only
        .address_space:  global
        .offset:         24
        .size:           8
        .value_kind:     global_buffer
      - .actual_access:  read_only
        .address_space:  global
        .offset:         32
        .size:           8
        .value_kind:     global_buffer
      - .offset:         40
        .size:           8
        .value_kind:     by_value
      - .address_space:  global
        .offset:         48
        .size:           8
        .value_kind:     global_buffer
      - .address_space:  global
        .offset:         56
        .size:           8
        .value_kind:     global_buffer
      - .address_space:  global
        .offset:         64
        .size:           8
        .value_kind:     global_buffer
      - .address_space:  global
        .offset:         72
        .size:           8
        .value_kind:     global_buffer
      - .offset:         80
        .size:           4
        .value_kind:     by_value
      - .address_space:  global
        .offset:         88
        .size:           8
        .value_kind:     global_buffer
      - .address_space:  global
        .offset:         96
        .size:           8
        .value_kind:     global_buffer
    .group_segment_fixed_size: 28560
    .kernarg_segment_align: 8
    .kernarg_segment_size: 104
    .language:       OpenCL C
    .language_version:
      - 2
      - 0
    .max_flat_workgroup_size: 119
    .name:           bluestein_single_fwd_len1785_dim1_dp_op_CI_CI
    .private_segment_fixed_size: 872
    .sgpr_count:     72
    .sgpr_spill_count: 0
    .symbol:         bluestein_single_fwd_len1785_dim1_dp_op_CI_CI.kd
    .uniform_work_group_size: 1
    .uses_dynamic_stack: false
    .vgpr_count:     256
    .vgpr_spill_count: 249
    .wavefront_size: 64
amdhsa.target:   amdgcn-amd-amdhsa--gfx906
amdhsa.version:
  - 1
  - 2
...

	.end_amdgpu_metadata
